;; amdgpu-corpus repo=ROCm/rocFFT kind=compiled arch=gfx1201 opt=O3
	.text
	.amdgcn_target "amdgcn-amd-amdhsa--gfx1201"
	.amdhsa_code_object_version 6
	.protected	bluestein_single_fwd_len650_dim1_sp_op_CI_CI ; -- Begin function bluestein_single_fwd_len650_dim1_sp_op_CI_CI
	.globl	bluestein_single_fwd_len650_dim1_sp_op_CI_CI
	.p2align	8
	.type	bluestein_single_fwd_len650_dim1_sp_op_CI_CI,@function
bluestein_single_fwd_len650_dim1_sp_op_CI_CI: ; @bluestein_single_fwd_len650_dim1_sp_op_CI_CI
; %bb.0:
	s_load_b128 s[12:15], s[0:1], 0x28
	v_mul_u32_u24_e32 v1, 0x3f1, v0
	s_mov_b32 s2, exec_lo
	s_delay_alu instid0(VALU_DEP_1) | instskip(NEXT) | instid1(VALU_DEP_1)
	v_lshrrev_b32_e32 v1, 16, v1
	v_mad_co_u64_u32 v[64:65], null, ttmp9, 3, v[1:2]
	v_mov_b32_e32 v65, 0
	s_wait_kmcnt 0x0
	s_delay_alu instid0(VALU_DEP_1)
	v_cmpx_gt_u64_e64 s[12:13], v[64:65]
	s_cbranch_execz .LBB0_10
; %bb.1:
	s_clause 0x1
	s_load_b128 s[4:7], s[0:1], 0x18
	s_load_b128 s[8:11], s[0:1], 0x0
	v_mul_lo_u16 v1, 0x41, v1
	s_delay_alu instid0(VALU_DEP_1) | instskip(NEXT) | instid1(VALU_DEP_1)
	v_sub_nc_u16 v16, v0, v1
	v_and_b32_e32 v89, 0xffff, v16
	v_add_nc_u16 v27, v16, 0x41
	s_delay_alu instid0(VALU_DEP_2)
	v_lshlrev_b32_e32 v92, 3, v89
	s_wait_kmcnt 0x0
	s_load_b128 s[16:19], s[4:5], 0x0
	s_clause 0x7
	global_load_b64 v[73:74], v92, s[8:9]
	global_load_b64 v[75:76], v92, s[8:9] offset:520
	global_load_b64 v[79:80], v92, s[8:9] offset:1040
	;; [unrolled: 1-line block ×7, first 2 shown]
	s_wait_kmcnt 0x0
	v_mad_co_u64_u32 v[0:1], null, s18, v64, 0
	v_mad_co_u64_u32 v[2:3], null, s16, v89, 0
	s_mul_u64 s[2:3], s[16:17], 0x208
	s_delay_alu instid0(VALU_DEP_1) | instskip(NEXT) | instid1(VALU_DEP_1)
	v_mad_co_u64_u32 v[4:5], null, s19, v64, v[1:2]
	v_mad_co_u64_u32 v[5:6], null, s17, v89, v[3:4]
	v_mov_b32_e32 v1, v4
	s_delay_alu instid0(VALU_DEP_1) | instskip(NEXT) | instid1(VALU_DEP_3)
	v_lshlrev_b64_e32 v[0:1], 3, v[0:1]
	v_mov_b32_e32 v3, v5
	s_delay_alu instid0(VALU_DEP_2) | instskip(NEXT) | instid1(VALU_DEP_2)
	v_add_co_u32 v0, vcc_lo, s14, v0
	v_lshlrev_b64_e32 v[2:3], 3, v[2:3]
	s_delay_alu instid0(VALU_DEP_4) | instskip(NEXT) | instid1(VALU_DEP_2)
	v_add_co_ci_u32_e32 v1, vcc_lo, s15, v1, vcc_lo
	v_add_co_u32 v0, vcc_lo, v0, v2
	s_wait_alu 0xfffd
	s_delay_alu instid0(VALU_DEP_2) | instskip(NEXT) | instid1(VALU_DEP_2)
	v_add_co_ci_u32_e32 v1, vcc_lo, v1, v3, vcc_lo
	v_add_co_u32 v2, vcc_lo, v0, s2
	s_wait_alu 0xfffd
	s_delay_alu instid0(VALU_DEP_2) | instskip(SKIP_4) | instid1(VALU_DEP_2)
	v_add_co_ci_u32_e32 v3, vcc_lo, s3, v1, vcc_lo
	global_load_b64 v[0:1], v[0:1], off
	v_add_co_u32 v4, vcc_lo, v2, s2
	s_wait_alu 0xfffd
	v_add_co_ci_u32_e32 v5, vcc_lo, s3, v3, vcc_lo
	v_add_co_u32 v6, vcc_lo, v4, s2
	s_wait_alu 0xfffd
	s_delay_alu instid0(VALU_DEP_2)
	v_add_co_ci_u32_e32 v7, vcc_lo, s3, v5, vcc_lo
	s_clause 0x1
	global_load_b64 v[2:3], v[2:3], off
	global_load_b64 v[4:5], v[4:5], off
	v_add_co_u32 v8, vcc_lo, v6, s2
	s_wait_alu 0xfffd
	v_add_co_ci_u32_e32 v9, vcc_lo, s3, v7, vcc_lo
	v_and_b32_e32 v23, 0xff, v27
	s_delay_alu instid0(VALU_DEP_3) | instskip(SKIP_1) | instid1(VALU_DEP_3)
	v_add_co_u32 v10, vcc_lo, v8, s2
	s_wait_alu 0xfffd
	v_add_co_ci_u32_e32 v11, vcc_lo, s3, v9, vcc_lo
	s_clause 0x1
	global_load_b64 v[6:7], v[6:7], off
	global_load_b64 v[8:9], v[8:9], off
	v_add_co_u32 v12, vcc_lo, v10, s2
	s_wait_alu 0xfffd
	v_add_co_ci_u32_e32 v13, vcc_lo, s3, v11, vcc_lo
	global_load_b64 v[10:11], v[10:11], off
	v_add_co_u32 v14, vcc_lo, v12, s2
	s_wait_alu 0xfffd
	v_add_co_ci_u32_e32 v15, vcc_lo, s3, v13, vcc_lo
	;; [unrolled: 4-line block ×4, first 2 shown]
	global_load_b64 v[21:22], v[17:18], off
	s_clause 0x1
	global_load_b64 v[81:82], v92, s[8:9] offset:4160
	global_load_b64 v[83:84], v92, s[8:9] offset:4680
	global_load_b64 v[18:19], v[19:20], off
	v_mul_hi_u32 v17, 0xaaaaaaab, v64
	v_and_b32_e32 v20, 0xff, v16
	s_load_b128 s[4:7], s[6:7], 0x0
	v_cmp_gt_u16_e32 vcc_lo, 50, v16
	s_load_b64 s[2:3], s[0:1], 0x38
	v_add_co_u32 v85, s0, s8, v92
	v_mul_lo_u16 v20, 0xcd, v20
	v_lshrrev_b32_e32 v17, 1, v17
	s_wait_alu 0xf1ff
	v_add_co_ci_u32_e64 v86, null, s9, 0, s0
	s_delay_alu instid0(VALU_DEP_3) | instskip(NEXT) | instid1(VALU_DEP_3)
	v_lshrrev_b16 v28, 11, v20
	v_lshl_add_u32 v17, v17, 1, v17
	s_delay_alu instid0(VALU_DEP_2) | instskip(NEXT) | instid1(VALU_DEP_2)
	v_mul_lo_u16 v29, v28, 10
	v_sub_nc_u32_e32 v17, v64, v17
	s_delay_alu instid0(VALU_DEP_1) | instskip(SKIP_1) | instid1(VALU_DEP_1)
	v_mul_u32_u24_e32 v17, 0x28a, v17
	s_wait_loadcnt 0xb
	v_dual_mul_f32 v20, v0, v74 :: v_dual_lshlrev_b32 v91, 3, v17
	s_delay_alu instid0(VALU_DEP_1)
	v_fma_f32 v24, v1, v73, -v20
	s_wait_loadcnt 0xa
	v_mul_f32_e32 v26, v2, v76
	v_mul_lo_u16 v17, 0xcd, v23
	v_mul_f32_e32 v23, v1, v74
	v_mul_f32_e32 v25, v3, v76
	s_wait_loadcnt 0x9
	v_mul_f32_e32 v1, v4, v80
	v_fma_f32 v26, v3, v75, -v26
	v_lshrrev_b16 v30, 11, v17
	v_dual_fmac_f32 v23, v0, v73 :: v_dual_mul_f32 v0, v5, v80
	v_add_nc_u32_e32 v90, v92, v91
	s_wait_loadcnt 0x8
	v_dual_fmac_f32 v25, v2, v75 :: v_dual_mul_f32 v2, v7, v66
	s_delay_alu instid0(VALU_DEP_3) | instskip(NEXT) | instid1(VALU_DEP_3)
	v_dual_mul_f32 v3, v6, v66 :: v_dual_fmac_f32 v0, v4, v79
	v_add_nc_u32_e32 v17, 0x800, v90
	s_wait_loadcnt 0x7
	v_mul_f32_e32 v4, v9, v70
	v_fma_f32 v1, v5, v79, -v1
	v_fmac_f32_e32 v2, v6, v65
	s_wait_loadcnt 0x6
	v_dual_mul_f32 v6, v11, v72 :: v_dual_mul_f32 v5, v8, v70
	v_dual_fmac_f32 v4, v8, v69 :: v_dual_add_nc_u32 v31, 0x1000, v90
	v_fma_f32 v3, v7, v65, -v3
	s_wait_loadcnt 0x5
	v_dual_mul_f32 v8, v13, v78 :: v_dual_mul_f32 v7, v10, v72
	v_fmac_f32_e32 v6, v10, v71
	v_fma_f32 v5, v9, v69, -v5
	s_wait_loadcnt 0x4
	v_dual_mul_f32 v9, v12, v78 :: v_dual_mul_f32 v10, v15, v68
	v_fmac_f32_e32 v8, v12, v77
	v_fma_f32 v7, v11, v71, -v7
	s_wait_loadcnt 0x2
	v_mul_f32_e32 v12, v22, v82
	v_mul_f32_e32 v11, v14, v68
	v_fma_f32 v9, v13, v77, -v9
	v_dual_fmac_f32 v10, v14, v67 :: v_dual_mul_f32 v13, v21, v82
	s_wait_loadcnt 0x0
	v_mul_f32_e32 v14, v19, v84
	v_mul_f32_e32 v20, v18, v84
	v_fmac_f32_e32 v12, v21, v81
	v_fma_f32 v11, v15, v67, -v11
	v_fma_f32 v13, v22, v81, -v13
	v_fmac_f32_e32 v14, v18, v83
	v_fma_f32 v15, v19, v83, -v20
	ds_store_2addr_b64 v90, v[23:24], v[25:26] offset1:65
	ds_store_2addr_b64 v90, v[0:1], v[2:3] offset0:130 offset1:195
	ds_store_2addr_b64 v17, v[4:5], v[6:7] offset0:4 offset1:69
	;; [unrolled: 1-line block ×4, first 2 shown]
	global_wb scope:SCOPE_SE
	s_wait_dscnt 0x0
	s_wait_kmcnt 0x0
	s_barrier_signal -1
	s_barrier_wait -1
	global_inv scope:SCOPE_SE
	ds_load_2addr_b64 v[0:3], v90 offset1:65
	ds_load_2addr_b64 v[4:7], v90 offset0:130 offset1:195
	ds_load_2addr_b64 v[8:11], v17 offset0:4 offset1:69
	;; [unrolled: 1-line block ×4, first 2 shown]
	v_mul_lo_u16 v22, v16, 10
	v_sub_nc_u16 v23, v16, v29
	v_mul_lo_u16 v24, v30, 10
	global_wb scope:SCOPE_SE
	s_wait_dscnt 0x0
	s_barrier_signal -1
	v_and_b32_e32 v22, 0xffff, v22
	v_and_b32_e32 v34, 0xff, v23
	v_sub_nc_u16 v23, v27, v24
	s_barrier_wait -1
	global_inv scope:SCOPE_SE
	v_and_b32_e32 v35, 0xff, v23
	v_add_f32_e32 v23, v0, v4
	v_sub_f32_e32 v27, v4, v8
	v_lshl_add_u32 v93, v22, 3, v91
	v_dual_sub_f32 v29, v18, v12 :: v_dual_lshlrev_b32 v22, 5, v34
	v_sub_f32_e32 v33, v8, v4
	v_dual_add_f32 v24, v8, v12 :: v_dual_sub_f32 v41, v19, v13
	v_dual_sub_f32 v25, v5, v19 :: v_dual_add_f32 v32, v4, v18
	v_dual_sub_f32 v36, v12, v18 :: v_dual_sub_f32 v43, v13, v19
	v_add_f32_e32 v37, v1, v5
	v_dual_add_f32 v38, v9, v13 :: v_dual_add_f32 v45, v10, v14
	v_dual_sub_f32 v40, v5, v9 :: v_dual_sub_f32 v49, v20, v14
	v_dual_add_f32 v42, v5, v19 :: v_dual_sub_f32 v51, v10, v6
	v_dual_sub_f32 v5, v9, v5 :: v_dual_add_f32 v44, v2, v6
	v_dual_add_f32 v53, v3, v7 :: v_dual_sub_f32 v26, v9, v13
	v_sub_f32_e32 v39, v8, v12
	v_dual_sub_f32 v4, v4, v18 :: v_dual_sub_f32 v47, v11, v15
	v_dual_sub_f32 v46, v7, v21 :: v_dual_sub_f32 v55, v10, v14
	;; [unrolled: 1-line block ×3, first 2 shown]
	v_add_f32_e32 v50, v6, v20
	v_dual_sub_f32 v52, v14, v20 :: v_dual_sub_f32 v59, v15, v21
	v_dual_add_f32 v54, v11, v15 :: v_dual_add_f32 v9, v37, v9
	v_sub_f32_e32 v6, v6, v20
	v_sub_f32_e32 v56, v7, v11
	v_add_f32_e32 v58, v7, v21
	v_sub_f32_e32 v7, v11, v7
	v_dual_add_f32 v11, v53, v11 :: v_dual_add_f32 v8, v23, v8
	v_fma_f32 v23, -0.5, v24, v0
	v_add_f32_e32 v24, v27, v29
	v_fma_f32 v27, -0.5, v32, v0
	v_dual_add_f32 v0, v33, v36 :: v_dual_add_f32 v7, v7, v59
	v_fma_f32 v29, -0.5, v38, v1
	v_fma_f32 v33, -0.5, v42, v1
	v_add_f32_e32 v1, v5, v43
	v_add_f32_e32 v5, v44, v10
	v_fma_f32 v10, -0.5, v45, v2
	v_dual_add_f32 v32, v40, v41 :: v_dual_add_f32 v37, v51, v52
	v_add_f32_e32 v36, v48, v49
	v_fma_f32 v2, -0.5, v50, v2
	v_fma_f32 v38, -0.5, v54, v3
	v_dual_fmac_f32 v3, -0.5, v58 :: v_dual_add_f32 v8, v8, v12
	v_dual_fmamk_f32 v12, v25, 0x3f737871, v23 :: v_dual_add_f32 v11, v11, v15
	v_fmac_f32_e32 v23, 0xbf737871, v25
	v_fmamk_f32 v41, v26, 0xbf737871, v27
	v_fmac_f32_e32 v27, 0x3f737871, v26
	v_dual_add_f32 v9, v9, v13 :: v_dual_fmamk_f32 v42, v39, 0x3f737871, v33
	v_dual_fmac_f32 v33, 0xbf737871, v39 :: v_dual_add_f32 v8, v8, v18
	v_dual_add_f32 v5, v5, v14 :: v_dual_fmamk_f32 v14, v46, 0x3f737871, v10
	v_add_f32_e32 v40, v56, v57
	v_dual_fmamk_f32 v13, v4, 0xbf737871, v29 :: v_dual_fmac_f32 v10, 0xbf737871, v46
	v_fmac_f32_e32 v29, 0x3f737871, v4
	v_fmamk_f32 v43, v47, 0xbf737871, v2
	v_fmac_f32_e32 v2, 0x3f737871, v47
	v_dual_fmac_f32 v12, 0x3f167918, v26 :: v_dual_fmac_f32 v41, 0x3f167918, v25
	v_dual_fmac_f32 v23, 0xbf167918, v26 :: v_dual_fmac_f32 v42, 0xbf167918, v4
	;; [unrolled: 1-line block ×3, first 2 shown]
	v_add_f32_e32 v9, v9, v19
	v_dual_fmac_f32 v33, 0x3f167918, v4 :: v_dual_fmac_f32 v14, 0x3f167918, v47
	v_dual_add_f32 v4, v5, v20 :: v_dual_fmamk_f32 v15, v6, 0xbf737871, v38
	v_dual_fmac_f32 v38, 0x3f737871, v6 :: v_dual_add_f32 v5, v11, v21
	v_fmamk_f32 v44, v55, 0x3f737871, v3
	v_fmac_f32_e32 v3, 0xbf737871, v55
	v_dual_fmac_f32 v13, 0xbf167918, v39 :: v_dual_fmac_f32 v2, 0xbf167918, v46
	s_delay_alu instid0(VALU_DEP_4) | instskip(SKIP_2) | instid1(VALU_DEP_4)
	v_dual_fmac_f32 v43, 0x3f167918, v46 :: v_dual_fmac_f32 v38, 0x3f167918, v55
	v_dual_fmac_f32 v12, 0x3e9e377a, v24 :: v_dual_fmac_f32 v33, 0x3e9e377a, v1
	;; [unrolled: 1-line block ×4, first 2 shown]
	v_fmac_f32_e32 v27, 0x3e9e377a, v0
	v_dual_fmac_f32 v14, 0x3e9e377a, v36 :: v_dual_fmac_f32 v43, 0x3e9e377a, v37
	v_dual_add_f32 v0, v8, v4 :: v_dual_add_f32 v1, v9, v5
	v_dual_fmac_f32 v15, 0xbf167918, v55 :: v_dual_fmac_f32 v44, 0xbf167918, v6
	s_delay_alu instid0(VALU_DEP_3) | instskip(SKIP_2) | instid1(VALU_DEP_4)
	v_mul_f32_e32 v21, 0xbf167918, v14
	v_fmac_f32_e32 v13, 0x3e9e377a, v32
	v_fmac_f32_e32 v38, 0x3e9e377a, v40
	;; [unrolled: 1-line block ×3, first 2 shown]
	v_mul_f32_e32 v18, 0x3f4f1bbd, v14
	v_dual_fmac_f32 v3, 0x3f167918, v6 :: v_dual_sub_f32 v6, v8, v4
	v_mul_f32_e32 v4, 0x3e9e377a, v2
	v_fmac_f32_e32 v44, 0x3e9e377a, v7
	s_delay_alu instid0(VALU_DEP_4) | instskip(NEXT) | instid1(VALU_DEP_4)
	v_fmac_f32_e32 v18, 0x3f167918, v15
	v_dual_fmac_f32 v10, 0x3e9e377a, v36 :: v_dual_fmac_f32 v3, 0x3e9e377a, v7
	v_sub_f32_e32 v7, v9, v5
	v_fmac_f32_e32 v29, 0x3f167918, v39
	s_delay_alu instid0(VALU_DEP_3) | instskip(NEXT) | instid1(VALU_DEP_4)
	v_fma_f32 v20, 0x3f737871, v3, -v4
	v_mul_f32_e32 v5, 0x3f4f1bbd, v10
	v_mul_f32_e32 v8, 0x3e9e377a, v3
	;; [unrolled: 1-line block ×3, first 2 shown]
	s_delay_alu instid0(VALU_DEP_3) | instskip(SKIP_1) | instid1(VALU_DEP_4)
	v_fma_f32 v25, 0x3f167918, v38, -v5
	v_mul_f32_e32 v19, 0x3f737871, v44
	v_fma_f32 v26, 0xbf737871, v2, -v8
	v_add_f32_e32 v2, v12, v18
	s_delay_alu instid0(VALU_DEP_3) | instskip(NEXT) | instid1(VALU_DEP_3)
	v_dual_add_f32 v4, v23, v25 :: v_dual_fmac_f32 v19, 0x3e9e377a, v43
	v_add_f32_e32 v11, v33, v26
	s_delay_alu instid0(VALU_DEP_2) | instskip(SKIP_3) | instid1(VALU_DEP_3)
	v_sub_f32_e32 v14, v41, v19
	v_fmac_f32_e32 v21, 0x3f4f1bbd, v15
	v_mul_f32_e32 v24, 0xbf737871, v43
	v_sub_f32_e32 v12, v12, v18
	v_dual_sub_f32 v18, v27, v20 :: v_dual_add_f32 v3, v13, v21
	s_delay_alu instid0(VALU_DEP_3) | instskip(SKIP_3) | instid1(VALU_DEP_4)
	v_dual_sub_f32 v13, v13, v21 :: v_dual_fmac_f32 v24, 0x3e9e377a, v44
	v_dual_fmac_f32 v29, 0x3e9e377a, v32 :: v_dual_add_f32 v8, v41, v19
	v_fma_f32 v32, 0xbf167918, v10, -v9
	v_add_f32_e32 v10, v27, v20
	v_dual_add_f32 v9, v42, v24 :: v_dual_sub_f32 v20, v23, v25
	v_sub_f32_e32 v15, v42, v24
	s_delay_alu instid0(VALU_DEP_4)
	v_add_f32_e32 v5, v29, v32
	v_sub_f32_e32 v19, v33, v26
	v_dual_sub_f32 v21, v29, v32 :: v_dual_and_b32 v26, 0xffff, v30
	ds_store_b128 v93, v[0:3]
	ds_store_b128 v93, v[8:11] offset:16
	ds_store_b128 v93, v[4:7] offset:32
	;; [unrolled: 1-line block ×4, first 2 shown]
	v_lshlrev_b32_e32 v0, 5, v35
	global_wb scope:SCOPE_SE
	s_wait_dscnt 0x0
	s_barrier_signal -1
	s_barrier_wait -1
	global_inv scope:SCOPE_SE
	s_clause 0x3
	global_load_b128 v[12:15], v22, s[10:11]
	global_load_b128 v[8:11], v22, s[10:11] offset:16
	global_load_b128 v[4:7], v0, s[10:11]
	global_load_b128 v[0:3], v0, s[10:11] offset:16
	v_and_b32_e32 v22, 0xffff, v28
	ds_load_2addr_b64 v[18:21], v90 offset0:130 offset1:195
	v_mul_u32_u24_e32 v37, 50, v26
	ds_load_2addr_b64 v[26:29], v17 offset0:134 offset1:199
	ds_load_2addr_b64 v[30:33], v31 offset0:8 offset1:73
	v_mul_u32_u24_e32 v36, 50, v22
	ds_load_2addr_b64 v[22:25], v17 offset0:4 offset1:69
	ds_load_2addr_b64 v[38:41], v90 offset1:65
	global_wb scope:SCOPE_SE
	s_wait_loadcnt_dscnt 0x0
	s_barrier_signal -1
	v_add_nc_u32_e32 v16, v36, v34
	v_add_nc_u32_e32 v34, v37, v35
	s_barrier_wait -1
	global_inv scope:SCOPE_SE
	v_lshl_add_u32 v95, v16, 3, v91
	v_mul_f32_e32 v37, v27, v9
	v_lshl_add_u32 v94, v34, 3, v91
	v_mul_f32_e32 v16, v19, v13
	v_dual_mul_f32 v34, v18, v13 :: v_dual_mul_f32 v35, v23, v15
	v_dual_mul_f32 v42, v31, v11 :: v_dual_mul_f32 v51, v28, v1
	;; [unrolled: 1-line block ×5, first 2 shown]
	s_delay_alu instid0(VALU_DEP_3)
	v_dual_mul_f32 v50, v24, v7 :: v_dual_fmac_f32 v45, v31, v10
	v_dual_mul_f32 v49, v33, v3 :: v_dual_fmac_f32 v34, v19, v12
	v_dual_mul_f32 v60, v32, v3 :: v_dual_fmac_f32 v51, v29, v0
	v_fma_f32 v16, v18, v12, -v16
	v_fma_f32 v18, v22, v14, -v35
	;; [unrolled: 1-line block ×3, first 2 shown]
	v_mul_f32_e32 v48, v29, v1
	v_fma_f32 v22, v30, v10, -v42
	v_fmac_f32_e32 v36, v23, v14
	v_dual_fmac_f32 v44, v27, v8 :: v_dual_add_f32 v35, v34, v45
	v_fma_f32 v20, v20, v4, -v43
	v_dual_fmac_f32 v50, v25, v6 :: v_dual_sub_f32 v29, v18, v16
	v_add_f32_e32 v25, v18, v19
	v_fma_f32 v23, v28, v0, -v48
	v_dual_sub_f32 v27, v22, v19 :: v_dual_fmac_f32 v46, v21, v4
	v_sub_f32_e32 v37, v36, v34
	v_fma_f32 v21, v24, v6, -v47
	v_fma_f32 v24, v32, v2, -v49
	v_dual_fmac_f32 v60, v33, v2 :: v_dual_add_f32 v31, v36, v44
	v_dual_sub_f32 v26, v16, v18 :: v_dual_sub_f32 v33, v45, v44
	s_delay_alu instid0(VALU_DEP_4)
	v_dual_add_f32 v28, v16, v22 :: v_dual_add_f32 v43, v21, v23
	v_dual_sub_f32 v30, v19, v22 :: v_dual_add_f32 v47, v40, v20
	v_dual_sub_f32 v32, v34, v36 :: v_dual_sub_f32 v53, v24, v23
	v_dual_sub_f32 v42, v44, v45 :: v_dual_sub_f32 v57, v21, v20
	v_dual_sub_f32 v52, v20, v21 :: v_dual_add_f32 v59, v50, v51
	v_dual_add_f32 v56, v20, v24 :: v_dual_sub_f32 v61, v46, v50
	v_dual_sub_f32 v62, v60, v51 :: v_dual_add_f32 v63, v46, v60
	v_dual_add_f32 v96, v41, v46 :: v_dual_sub_f32 v99, v36, v44
	v_dual_add_f32 v97, v39, v34 :: v_dual_add_f32 v98, v38, v16
	v_dual_sub_f32 v58, v23, v24 :: v_dual_sub_f32 v87, v50, v46
	v_dual_sub_f32 v88, v51, v60 :: v_dual_sub_f32 v103, v21, v23
	v_sub_f32_e32 v34, v34, v45
	v_dual_sub_f32 v16, v16, v22 :: v_dual_sub_f32 v101, v46, v60
	v_sub_f32_e32 v100, v18, v19
	v_sub_f32_e32 v102, v50, v51
	;; [unrolled: 1-line block ×3, first 2 shown]
	v_dual_add_f32 v26, v26, v27 :: v_dual_add_f32 v21, v47, v21
	v_fma_f32 v48, -0.5, v25, v38
	v_fma_f32 v49, -0.5, v31, v39
	v_add_f32_e32 v27, v32, v33
	v_fma_f32 v54, -0.5, v28, v38
	v_fma_f32 v55, -0.5, v35, v39
	v_add_f32_e32 v28, v37, v42
	v_fma_f32 v42, -0.5, v43, v40
	v_fma_f32 v40, -0.5, v56, v40
	;; [unrolled: 1-line block ×3, first 2 shown]
	v_dual_fmac_f32 v41, -0.5, v63 :: v_dual_add_f32 v32, v97, v36
	v_add_f32_e32 v33, v96, v50
	v_add_f32_e32 v18, v98, v18
	;; [unrolled: 1-line block ×3, first 2 shown]
	v_dual_add_f32 v29, v52, v53 :: v_dual_add_f32 v30, v57, v58
	v_add_f32_e32 v35, v87, v88
	s_delay_alu instid0(VALU_DEP_4)
	v_dual_add_f32 v31, v61, v62 :: v_dual_add_f32 v18, v18, v19
	v_fmamk_f32 v47, v16, 0xbf737871, v49
	v_dual_add_f32 v21, v21, v23 :: v_dual_fmamk_f32 v46, v34, 0x3f737871, v48
	v_dual_add_f32 v23, v33, v51 :: v_dual_fmac_f32 v48, 0xbf737871, v34
	v_fmamk_f32 v52, v99, 0xbf737871, v54
	v_dual_fmac_f32 v54, 0x3f737871, v99 :: v_dual_fmac_f32 v49, 0x3f737871, v16
	v_dual_fmamk_f32 v53, v100, 0x3f737871, v55 :: v_dual_fmamk_f32 v56, v101, 0x3f737871, v42
	v_dual_fmac_f32 v55, 0xbf737871, v100 :: v_dual_fmac_f32 v42, 0xbf737871, v101
	v_dual_fmamk_f32 v57, v20, 0xbf737871, v43 :: v_dual_fmamk_f32 v58, v102, 0xbf737871, v40
	v_dual_fmac_f32 v40, 0x3f737871, v102 :: v_dual_fmac_f32 v43, 0x3f737871, v20
	v_fmamk_f32 v59, v103, 0x3f737871, v41
	v_fmac_f32_e32 v41, 0xbf737871, v103
	v_dual_add_f32 v19, v32, v44 :: v_dual_add_f32 v44, v18, v22
	v_fmac_f32_e32 v46, 0x3f167918, v99
	v_dual_fmac_f32 v48, 0xbf167918, v99 :: v_dual_fmac_f32 v47, 0xbf167918, v100
	v_dual_fmac_f32 v52, 0x3f167918, v34 :: v_dual_fmac_f32 v49, 0x3f167918, v100
	;; [unrolled: 1-line block ×4, first 2 shown]
	v_dual_add_f32 v50, v21, v24 :: v_dual_fmac_f32 v57, 0xbf167918, v103
	v_dual_fmac_f32 v42, 0xbf167918, v102 :: v_dual_add_f32 v51, v23, v60
	v_dual_fmac_f32 v58, 0x3f167918, v101 :: v_dual_fmac_f32 v43, 0x3f167918, v103
	v_dual_fmac_f32 v40, 0xbf167918, v101 :: v_dual_fmac_f32 v59, 0xbf167918, v20
	v_fmac_f32_e32 v41, 0x3f167918, v20
	v_dual_add_f32 v45, v19, v45 :: v_dual_fmac_f32 v46, 0x3e9e377a, v26
	v_dual_fmac_f32 v47, 0x3e9e377a, v27 :: v_dual_fmac_f32 v48, 0x3e9e377a, v26
	v_dual_fmac_f32 v49, 0x3e9e377a, v27 :: v_dual_fmac_f32 v52, 0x3e9e377a, v25
	v_dual_fmac_f32 v53, 0x3e9e377a, v28 :: v_dual_fmac_f32 v54, 0x3e9e377a, v25
	v_dual_fmac_f32 v55, 0x3e9e377a, v28 :: v_dual_fmac_f32 v56, 0x3e9e377a, v29
	v_dual_fmac_f32 v57, 0x3e9e377a, v31 :: v_dual_fmac_f32 v42, 0x3e9e377a, v29
	v_dual_fmac_f32 v43, 0x3e9e377a, v31 :: v_dual_fmac_f32 v58, 0x3e9e377a, v30
	v_dual_fmac_f32 v59, 0x3e9e377a, v35 :: v_dual_fmac_f32 v40, 0x3e9e377a, v30
	v_fmac_f32_e32 v41, 0x3e9e377a, v35
	ds_store_2addr_b64 v95, v[44:45], v[46:47] offset1:10
	ds_store_2addr_b64 v95, v[52:53], v[54:55] offset0:20 offset1:30
	ds_store_b64 v95, v[48:49] offset:320
	ds_store_2addr_b64 v94, v[50:51], v[56:57] offset1:10
	ds_store_2addr_b64 v94, v[58:59], v[40:41] offset0:20 offset1:30
	ds_store_b64 v94, v[42:43] offset:320
	global_wb scope:SCOPE_SE
	s_wait_dscnt 0x0
	s_barrier_signal -1
	s_barrier_wait -1
	global_inv scope:SCOPE_SE
                                        ; implicit-def: $vgpr60
                                        ; implicit-def: $vgpr87
	s_and_saveexec_b32 s0, vcc_lo
	s_cbranch_execz .LBB0_3
; %bb.2:
	v_add_nc_u32_e32 v16, 0xc00, v90
	ds_load_2addr_b64 v[44:47], v90 offset1:50
	ds_load_2addr_b64 v[40:43], v17 offset0:144 offset1:194
	ds_load_2addr_b64 v[52:55], v90 offset0:100 offset1:150
	;; [unrolled: 1-line block ×4, first 2 shown]
	ds_load_b64 v[87:88], v90 offset:4800
	ds_load_2addr_b64 v[60:63], v16 offset0:116 offset1:166
.LBB0_3:
	s_wait_alu 0xfffe
	s_or_b32 exec_lo, exec_lo, s0
	v_subrev_nc_u32_e32 v16, 50, v89
	s_delay_alu instid0(VALU_DEP_1) | instskip(NEXT) | instid1(VALU_DEP_1)
	v_cndmask_b32_e32 v16, v16, v89, vcc_lo
	v_mul_i32_i24_e32 v17, 0x60, v16
	v_mul_hi_i32_i24_e32 v16, 0x60, v16
	s_delay_alu instid0(VALU_DEP_2) | instskip(SKIP_1) | instid1(VALU_DEP_2)
	v_add_co_u32 v36, s0, s10, v17
	s_wait_alu 0xf1ff
	v_add_co_ci_u32_e64 v37, s0, s11, v16, s0
	s_clause 0x5
	global_load_b128 v[32:35], v[36:37], off offset:320
	global_load_b128 v[24:27], v[36:37], off offset:336
	global_load_b128 v[20:23], v[36:37], off offset:352
	global_load_b128 v[16:19], v[36:37], off offset:368
	global_load_b128 v[28:31], v[36:37], off offset:384
	global_load_b128 v[36:39], v[36:37], off offset:400
	s_wait_loadcnt_dscnt 0x504
	v_dual_mul_f32 v101, v47, v33 :: v_dual_mul_f32 v106, v53, v35
	s_wait_loadcnt_dscnt 0x403
	v_dual_mul_f32 v112, v46, v33 :: v_dual_mul_f32 v105, v48, v27
	s_wait_loadcnt_dscnt 0x100
	v_dual_mul_f32 v97, v42, v29 :: v_dual_mul_f32 v122, v61, v31
	s_wait_loadcnt 0x0
	v_dual_mul_f32 v98, v60, v31 :: v_dual_mul_f32 v123, v63, v37
	v_dual_mul_f32 v110, v52, v35 :: v_dual_mul_f32 v107, v55, v25
	v_dual_mul_f32 v111, v51, v21 :: v_dual_mul_f32 v118, v57, v23
	v_dual_mul_f32 v119, v59, v17 :: v_dual_mul_f32 v120, v41, v19
	v_dual_mul_f32 v100, v40, v19 :: v_dual_mul_f32 v121, v43, v29
	v_dual_mul_f32 v99, v62, v37 :: v_dual_mul_f32 v124, v88, v39
	v_fma_f32 v117, v46, v32, -v101
	v_fma_f32 v116, v52, v34, -v106
	;; [unrolled: 1-line block ×4, first 2 shown]
	v_mul_f32_e32 v96, v87, v39
	v_dual_mul_f32 v108, v54, v25 :: v_dual_mul_f32 v103, v56, v23
	v_dual_mul_f32 v104, v50, v21 :: v_dual_fmac_f32 v105, v49, v26
	v_dual_fmac_f32 v110, v53, v34 :: v_dual_fmac_f32 v97, v43, v28
	v_fma_f32 v115, v54, v24, -v107
	v_fma_f32 v113, v50, v20, -v111
	;; [unrolled: 1-line block ×3, first 2 shown]
	v_dual_fmac_f32 v100, v41, v18 :: v_dual_fmac_f32 v99, v63, v36
	v_fmac_f32_e32 v112, v47, v32
	v_sub_f32_e32 v131, v116, v60
	v_dual_fmac_f32 v96, v88, v38 :: v_dual_mul_f32 v109, v49, v27
	v_dual_mul_f32 v102, v58, v17 :: v_dual_fmac_f32 v103, v57, v22
	v_dual_fmac_f32 v108, v55, v24 :: v_dual_sub_f32 v127, v110, v99
	v_add_f32_e32 v49, v110, v99
	v_add_f32_e32 v57, v113, v107
	v_dual_fmac_f32 v98, v61, v30 :: v_dual_add_f32 v47, v112, v96
	v_fmac_f32_e32 v104, v51, v20
	v_fma_f32 v51, v87, v38, -v124
	v_fma_f32 v114, v48, v26, -v109
	s_delay_alu instid0(VALU_DEP_4)
	v_sub_f32_e32 v129, v108, v98
	v_fma_f32 v111, v56, v22, -v118
	v_fma_f32 v109, v58, v16, -v119
	v_sub_f32_e32 v128, v117, v51
	v_fma_f32 v106, v42, v28, -v121
	v_fmac_f32_e32 v102, v59, v16
	v_dual_sub_f32 v126, v112, v96 :: v_dual_sub_f32 v143, v113, v107
	v_add_f32_e32 v59, v111, v109
	v_dual_add_f32 v50, v115, v101 :: v_dual_mul_f32 v125, 0xbeedf032, v128
	v_dual_sub_f32 v136, v115, v101 :: v_dual_mul_f32 v121, 0xbf52af12, v127
	v_dual_sub_f32 v130, v105, v97 :: v_dual_mul_f32 v123, 0xbf52af12, v131
	s_delay_alu instid0(VALU_DEP_3) | instskip(SKIP_2) | instid1(VALU_DEP_3)
	v_fma_f32 v41, 0x3f62ad3f, v47, -v125
	v_dual_add_f32 v46, v117, v51 :: v_dual_sub_f32 v141, v114, v106
	v_dual_add_f32 v54, v108, v98 :: v_dual_sub_f32 v149, v111, v109
	v_dual_mul_f32 v124, 0xbeedf032, v126 :: v_dual_add_f32 v41, v45, v41
	v_fma_f32 v43, 0x3f116cb1, v49, -v123
	v_dual_mul_f32 v122, 0xbf7e222b, v136 :: v_dual_add_f32 v55, v114, v106
	v_dual_add_f32 v56, v105, v97 :: v_dual_add_f32 v61, v103, v102
	v_dual_add_f32 v58, v104, v100 :: v_dual_mul_f32 v119, 0xbf6f5d39, v141
	v_dual_mul_f32 v139, 0xbf52af12, v126 :: v_dual_mul_f32 v148, 0xbf52af12, v128
	v_add_f32_e32 v41, v43, v41
	v_fma_f32 v53, 0x3df6dbef, v54, -v122
	v_dual_sub_f32 v134, v104, v100 :: v_dual_mul_f32 v87, 0xbf29c268, v143
	v_mul_f32_e32 v118, 0xbf6f5d39, v130
	v_fma_f32 v163, 0xbeb58ec6, v56, -v119
	s_delay_alu instid0(VALU_DEP_4)
	v_add_f32_e32 v41, v53, v41
	v_fma_f32 v170, 0x3f116cb1, v47, -v148
	v_mul_f32_e32 v161, 0xbf7e222b, v128
	v_mul_f32_e32 v142, 0x3f29c268, v130
	v_fma_f32 v165, 0xbf3f9e67, v58, -v87
	v_dual_add_f32 v41, v163, v41 :: v_dual_mul_f32 v160, 0xbe750f2a, v131
	v_add_f32_e32 v170, v45, v170
	v_fma_f32 v186, 0x3df6dbef, v47, -v161
	v_dual_add_f32 v48, v116, v60 :: v_dual_sub_f32 v137, v103, v102
	v_mul_f32_e32 v159, 0x3f6f5d39, v136
	v_fmamk_f32 v168, v46, 0x3f116cb1, v139
	s_delay_alu instid0(VALU_DEP_4) | instskip(SKIP_4) | instid1(VALU_DEP_4)
	v_add_f32_e32 v186, v45, v186
	v_dual_add_f32 v41, v165, v41 :: v_dual_fmamk_f32 v40, v46, 0x3f62ad3f, v124
	v_fma_f32 v187, 0xbf788fa5, v49, -v160
	v_mul_f32_e32 v138, 0xbf6f5d39, v127
	v_dual_mul_f32 v133, 0x3eedf032, v137 :: v_dual_mul_f32 v152, 0x3eedf032, v130
	v_dual_mul_f32 v135, 0x3eedf032, v149 :: v_dual_add_f32 v40, v44, v40
	v_dual_mul_f32 v153, 0x3f6f5d39, v129 :: v_dual_add_f32 v168, v44, v168
	v_fmamk_f32 v42, v48, 0x3f116cb1, v121
	v_fmamk_f32 v169, v48, 0xbeb58ec6, v138
	v_mul_f32_e32 v157, 0xbf52af12, v143
	s_delay_alu instid0(VALU_DEP_4)
	v_fmamk_f32 v182, v50, 0xbeb58ec6, v153
	v_fmamk_f32 v183, v55, 0x3f62ad3f, v152
	v_fma_f32 v188, 0xbeb58ec6, v54, -v159
	v_add_f32_e32 v40, v42, v40
	v_dual_add_f32 v42, v169, v168 :: v_dual_add_f32 v169, v187, v186
	v_mul_f32_e32 v144, 0xbf6f5d39, v131
	v_dual_mul_f32 v62, 0xbe750f2a, v137 :: v_dual_mul_f32 v145, 0xbe750f2a, v136
	v_dual_mul_f32 v132, 0x3f7e222b, v134 :: v_dual_mul_f32 v147, 0x3f7e222b, v143
	s_delay_alu instid0(VALU_DEP_4) | instskip(NEXT) | instid1(VALU_DEP_4)
	v_add_f32_e32 v53, v188, v169
	v_fma_f32 v171, 0xbeb58ec6, v49, -v144
	v_mul_f32_e32 v88, 0xbe750f2a, v149
	v_fma_f32 v173, 0xbf788fa5, v54, -v145
	v_dual_mul_f32 v120, 0xbf7e222b, v129 :: v_dual_mul_f32 v155, 0xbf7e222b, v126
	s_delay_alu instid0(VALU_DEP_4) | instskip(SKIP_2) | instid1(VALU_DEP_3)
	v_dual_add_f32 v43, v171, v170 :: v_dual_mul_f32 v140, 0xbe750f2a, v129
	v_fma_f32 v177, 0x3df6dbef, v58, -v147
	v_fma_f32 v179, 0x3f62ad3f, v61, -v135
	v_dual_fmamk_f32 v180, v46, 0x3df6dbef, v155 :: v_dual_add_f32 v43, v173, v43
	v_mul_f32_e32 v146, 0x3f29c268, v141
	v_mul_f32_e32 v151, 0xbf52af12, v134
	v_fma_f32 v190, 0x3f116cb1, v58, -v157
	s_delay_alu instid0(VALU_DEP_4)
	v_add_f32_e32 v180, v44, v180
	v_fma_f32 v167, 0xbf788fa5, v61, -v88
	v_fma_f32 v175, 0xbf3f9e67, v56, -v146
	v_fmamk_f32 v172, v50, 0xbf788fa5, v140
	v_dual_mul_f32 v63, 0xbf29c268, v134 :: v_dual_mul_f32 v150, 0xbf29c268, v137
	v_fmamk_f32 v162, v55, 0xbeb58ec6, v118
	s_delay_alu instid0(VALU_DEP_4) | instskip(SKIP_3) | instid1(VALU_DEP_4)
	v_dual_add_f32 v43, v175, v43 :: v_dual_mul_f32 v158, 0x3eedf032, v141
	v_fmamk_f32 v174, v55, 0xbf3f9e67, v142
	v_add_f32_e32 v42, v172, v42
	v_dual_fmamk_f32 v164, v57, 0xbf3f9e67, v63 :: v_dual_fmamk_f32 v185, v59, 0xbf3f9e67, v150
	v_add_f32_e32 v43, v177, v43
	v_fma_f32 v189, 0x3f62ad3f, v56, -v158
	v_mul_f32_e32 v154, 0xbe750f2a, v127
	v_mul_f32_e32 v156, 0xbf29c268, v149
	s_delay_alu instid0(VALU_DEP_4) | instskip(NEXT) | instid1(VALU_DEP_4)
	v_dual_fmamk_f32 v176, v57, 0x3df6dbef, v132 :: v_dual_add_f32 v43, v179, v43
	v_add_f32_e32 v53, v189, v53
	s_delay_alu instid0(VALU_DEP_4) | instskip(NEXT) | instid1(VALU_DEP_4)
	v_fmamk_f32 v181, v48, 0xbf788fa5, v154
	v_fma_f32 v191, 0xbf3f9e67, v61, -v156
	v_fmamk_f32 v184, v57, 0x3f116cb1, v151
	v_add_f32_e32 v42, v174, v42
	v_add_f32_e32 v163, v190, v53
	v_fmamk_f32 v52, v50, 0x3df6dbef, v120
	v_dual_add_f32 v168, v181, v180 :: v_dual_add_f32 v53, v167, v41
	v_fmamk_f32 v166, v59, 0xbf788fa5, v62
	s_delay_alu instid0(VALU_DEP_3) | instskip(NEXT) | instid1(VALU_DEP_3)
	v_dual_add_f32 v41, v191, v163 :: v_dual_add_f32 v40, v52, v40
	v_add_f32_e32 v52, v182, v168
	v_fmamk_f32 v178, v59, 0x3f62ad3f, v133
	v_add_f32_e32 v42, v176, v42
	s_delay_alu instid0(VALU_DEP_4) | instskip(NEXT) | instid1(VALU_DEP_4)
	v_add_f32_e32 v40, v162, v40
	v_add_f32_e32 v52, v183, v52
	s_delay_alu instid0(VALU_DEP_3) | instskip(NEXT) | instid1(VALU_DEP_3)
	v_add_f32_e32 v42, v178, v42
	v_add_f32_e32 v40, v164, v40
	s_delay_alu instid0(VALU_DEP_3) | instskip(NEXT) | instid1(VALU_DEP_2)
	v_add_f32_e32 v162, v184, v52
	v_add_f32_e32 v52, v166, v40
	s_delay_alu instid0(VALU_DEP_2)
	v_add_f32_e32 v40, v185, v162
	s_and_saveexec_b32 s0, vcc_lo
	s_cbranch_execz .LBB0_5
; %bb.4:
	v_mul_f32_e32 v201, 0xbe750f2a, v126
	v_mul_f32_e32 v204, 0x3eedf032, v127
	;; [unrolled: 1-line block ×3, first 2 shown]
	v_dual_mul_f32 v206, 0xbf29c268, v129 :: v_dual_mul_f32 v209, 0xbf29c268, v128
	s_delay_alu instid0(VALU_DEP_4) | instskip(SKIP_3) | instid1(VALU_DEP_4)
	v_fma_f32 v164, 0xbf788fa5, v46, -v201
	v_mul_f32_e32 v179, 0x3df6dbef, v54
	v_fma_f32 v165, 0x3f62ad3f, v48, -v204
	v_dual_mul_f32 v181, 0xbf788fa5, v54 :: v_dual_fmamk_f32 v162, v47, 0xbf788fa5, v189
	v_dual_add_f32 v164, v44, v164 :: v_dual_mul_f32 v195, 0x3df6dbef, v58
	v_mul_f32_e32 v198, 0xbf29c268, v136
	v_mul_f32_e32 v202, 0x3f52af12, v141
	s_delay_alu instid0(VALU_DEP_4) | instskip(NEXT) | instid1(VALU_DEP_4)
	v_add_f32_e32 v162, v45, v162
	v_add_f32_e32 v164, v165, v164
	v_fma_f32 v165, 0xbf3f9e67, v50, -v206
	v_mul_f32_e32 v194, 0x3eedf032, v131
	v_mul_f32_e32 v188, 0x3f62ad3f, v55
	;; [unrolled: 1-line block ×5, first 2 shown]
	v_fmamk_f32 v163, v49, 0x3f62ad3f, v194
	v_dual_mul_f32 v216, 0xbf52af12, v136 :: v_dual_mul_f32 v221, 0xbf52af12, v129
	v_fmamk_f32 v226, v61, 0xbeb58ec6, v225
	v_mul_f32_e32 v218, 0x3f7e222b, v127
	s_delay_alu instid0(VALU_DEP_4) | instskip(SKIP_2) | instid1(VALU_DEP_4)
	v_dual_add_f32 v162, v163, v162 :: v_dual_fmamk_f32 v163, v54, 0xbf3f9e67, v198
	v_fmamk_f32 v215, v49, 0x3df6dbef, v212
	v_fmamk_f32 v213, v61, 0x3df6dbef, v210
	v_fma_f32 v220, 0x3df6dbef, v48, -v218
	v_mul_f32_e32 v208, 0x3f52af12, v130
	v_dual_add_f32 v162, v163, v162 :: v_dual_fmamk_f32 v163, v56, 0x3f116cb1, v202
	v_mul_f32_e32 v205, 0xbf6f5d39, v143
	v_dual_mul_f32 v176, 0xbf788fa5, v48 :: v_dual_mul_f32 v177, 0xbf788fa5, v49
	v_mul_f32_e32 v224, 0x3f29c268, v131
	s_delay_alu instid0(VALU_DEP_3) | instskip(SKIP_3) | instid1(VALU_DEP_4)
	v_dual_add_f32 v162, v163, v162 :: v_dual_fmamk_f32 v163, v58, 0xbeb58ec6, v205
	v_mul_f32_e32 v207, 0x3f62ad3f, v61
	v_dual_mul_f32 v170, 0x3df6dbef, v46 :: v_dual_mul_f32 v171, 0x3df6dbef, v47
	v_mul_f32_e32 v136, 0x3eedf032, v136
	v_dual_add_f32 v162, v163, v162 :: v_dual_add_f32 v163, v165, v164
	v_fma_f32 v164, 0x3f116cb1, v55, -v208
	v_mul_f32_e32 v200, 0xbf788fa5, v61
	v_mul_f32_e32 v229, 0xbf6f5d39, v126
	v_dual_mul_f32 v190, 0x3f62ad3f, v56 :: v_dual_mul_f32 v203, 0x3f62ad3f, v59
	s_delay_alu instid0(VALU_DEP_4) | instskip(SKIP_3) | instid1(VALU_DEP_4)
	v_dual_add_f32 v164, v164, v163 :: v_dual_mul_f32 v211, 0xbf6f5d39, v134
	v_add_f32_e32 v163, v213, v162
	v_mul_f32_e32 v223, 0x3e750f2a, v130
	v_dual_mul_f32 v183, 0xbeb58ec6, v54 :: v_dual_mul_f32 v184, 0xbeb58ec6, v55
	v_fma_f32 v214, 0xbeb58ec6, v57, -v211
	v_dual_mul_f32 v196, 0x3f116cb1, v57 :: v_dual_mul_f32 v197, 0x3f116cb1, v58
	v_dual_mul_f32 v168, 0x3f116cb1, v46 :: v_dual_mul_f32 v169, 0x3f116cb1, v47
	s_delay_alu instid0(VALU_DEP_3) | instskip(SKIP_3) | instid1(VALU_DEP_4)
	v_dual_add_f32 v162, v214, v164 :: v_dual_fmamk_f32 v165, v47, 0xbf3f9e67, v209
	v_mul_f32_e32 v214, 0x3e750f2a, v141
	v_dual_mul_f32 v182, 0xbeb58ec6, v50 :: v_dual_mul_f32 v185, 0xbeb58ec6, v56
	v_dual_mul_f32 v174, 0xbeb58ec6, v48 :: v_dual_mul_f32 v175, 0xbeb58ec6, v49
	v_dual_add_f32 v165, v45, v165 :: v_dual_mul_f32 v180, 0xbf788fa5, v50
	v_mul_f32_e32 v199, 0xbf788fa5, v59
	v_dual_mul_f32 v186, 0xbf3f9e67, v55 :: v_dual_mul_f32 v187, 0xbf3f9e67, v56
	s_delay_alu instid0(VALU_DEP_3)
	v_dual_add_f32 v164, v215, v165 :: v_dual_fmamk_f32 v165, v54, 0x3f116cb1, v216
	v_mul_f32_e32 v213, 0xbf29c268, v126
	v_mul_f32_e32 v215, 0x3f7e222b, v137
	;; [unrolled: 1-line block ×3, first 2 shown]
	v_dual_mul_f32 v178, 0x3df6dbef, v50 :: v_dual_mul_f32 v193, 0x3df6dbef, v57
	v_add_f32_e32 v164, v165, v164
	v_fma_f32 v217, 0xbf3f9e67, v46, -v213
	v_fma_f32 v222, 0x3df6dbef, v59, -v215
	v_fmamk_f32 v165, v56, 0xbf788fa5, v214
	v_mul_f32_e32 v219, 0x3eedf032, v143
	v_fma_f32 v228, 0xbeb58ec6, v59, -v227
	s_delay_alu instid0(VALU_DEP_4) | instskip(NEXT) | instid1(VALU_DEP_4)
	v_dual_add_f32 v217, v44, v217 :: v_dual_add_f32 v162, v222, v162
	v_add_f32_e32 v164, v165, v164
	v_mul_f32_e32 v222, 0xbf6f5d39, v128
	v_fmamk_f32 v165, v58, 0x3f62ad3f, v219
	s_delay_alu instid0(VALU_DEP_4) | instskip(SKIP_4) | instid1(VALU_DEP_4)
	v_add_f32_e32 v217, v220, v217
	v_fma_f32 v220, 0x3f116cb1, v50, -v221
	v_mul_f32_e32 v143, 0x3e750f2a, v143
	v_dual_mul_f32 v191, 0xbf3f9e67, v57 :: v_dual_mul_f32 v192, 0xbf3f9e67, v58
	v_add_f32_e32 v128, v165, v164
	v_dual_add_f32 v164, v220, v217 :: v_dual_mul_f32 v217, 0x3eedf032, v134
	v_fma_f32 v165, 0xbf788fa5, v55, -v223
	v_mul_f32_e32 v134, 0x3e750f2a, v134
	v_dual_sub_f32 v132, v193, v132 :: v_dual_add_f32 v135, v135, v207
	v_dual_mul_f32 v166, 0x3f62ad3f, v46 :: v_dual_mul_f32 v167, 0x3f62ad3f, v47
	s_delay_alu instid0(VALU_DEP_4) | instskip(SKIP_4) | instid1(VALU_DEP_4)
	v_add_f32_e32 v131, v165, v164
	v_fma_f32 v164, 0x3f62ad3f, v57, -v217
	v_fmamk_f32 v220, v47, 0xbeb58ec6, v222
	v_sub_f32_e32 v138, v174, v138
	v_dual_mul_f32 v172, 0x3f116cb1, v48 :: v_dual_mul_f32 v173, 0x3f116cb1, v49
	v_add_f32_e32 v131, v164, v131
	s_delay_alu instid0(VALU_DEP_4) | instskip(SKIP_3) | instid1(VALU_DEP_3)
	v_add_f32_e32 v165, v45, v220
	v_fmamk_f32 v220, v49, 0xbf3f9e67, v224
	v_dual_fmac_f32 v204, 0x3f62ad3f, v48 :: v_dual_fmac_f32 v217, 0x3f62ad3f, v57
	v_fmac_f32_e32 v208, 0x3f116cb1, v55
	v_dual_sub_f32 v155, v170, v155 :: v_dual_add_f32 v164, v220, v165
	v_fmamk_f32 v220, v54, 0x3f62ad3f, v136
	v_dual_add_f32 v165, v226, v128 :: v_dual_mul_f32 v226, 0xbf3f9e67, v59
	v_fmac_f32_e32 v218, 0x3df6dbef, v48
	v_sub_f32_e32 v154, v176, v154
	s_delay_alu instid0(VALU_DEP_4)
	v_add_f32_e32 v126, v220, v164
	v_add_f32_e32 v164, v228, v131
	v_fma_f32 v131, 0xbeb58ec6, v46, -v229
	v_mul_f32_e32 v220, 0x3f29c268, v127
	v_mul_f32_e32 v228, 0x3eedf032, v129
	;; [unrolled: 1-line block ×3, first 2 shown]
	v_sub_f32_e32 v139, v168, v139
	v_add_f32_e32 v127, v44, v131
	v_add_f32_e32 v131, v161, v171
	v_mul_f32_e32 v171, 0xbf7e222b, v130
	v_add_f32_e32 v129, v156, v129
	v_dual_add_f32 v139, v44, v139 :: v_dual_add_f32 v112, v45, v112
	s_delay_alu instid0(VALU_DEP_4) | instskip(SKIP_1) | instid1(VALU_DEP_3)
	v_dual_add_f32 v130, v45, v131 :: v_dual_add_f32 v131, v160, v177
	v_fmamk_f32 v161, v58, 0xbf788fa5, v143
	v_dual_add_f32 v138, v138, v139 :: v_dual_sub_f32 v139, v180, v140
	v_add_f32_e32 v140, v146, v187
	s_delay_alu instid0(VALU_DEP_4) | instskip(SKIP_2) | instid1(VALU_DEP_3)
	v_dual_add_f32 v130, v131, v130 :: v_dual_mul_f32 v141, 0xbf7e222b, v141
	v_add_f32_e32 v131, v159, v183
	v_dual_mul_f32 v149, 0x3f52af12, v149 :: v_dual_add_f32 v110, v112, v110
	v_dual_add_f32 v87, v87, v192 :: v_dual_fmamk_f32 v128, v56, 0x3df6dbef, v141
	s_delay_alu instid0(VALU_DEP_3)
	v_add_f32_e32 v130, v131, v130
	v_add_f32_e32 v131, v158, v190
	v_mul_f32_e32 v137, 0x3f52af12, v137
	v_fmamk_f32 v158, v61, 0x3f116cb1, v149
	v_add_f32_e32 v126, v128, v126
	v_fma_f32 v128, 0xbf3f9e67, v48, -v220
	v_add_f32_e32 v130, v131, v130
	v_fma_f32 v159, 0x3f116cb1, v59, -v137
	v_add_f32_e32 v131, v157, v197
	s_delay_alu instid0(VALU_DEP_4) | instskip(SKIP_3) | instid1(VALU_DEP_3)
	v_dual_add_f32 v126, v161, v126 :: v_dual_add_f32 v127, v128, v127
	v_fma_f32 v128, 0x3f62ad3f, v50, -v228
	v_dual_add_f32 v155, v44, v155 :: v_dual_add_f32 v108, v110, v108
	v_dual_add_f32 v110, v44, v117 :: v_dual_add_f32 v117, v125, v167
	v_add_f32_e32 v127, v128, v127
	v_fma_f32 v128, 0x3df6dbef, v55, -v171
	s_delay_alu instid0(VALU_DEP_4) | instskip(SKIP_2) | instid1(VALU_DEP_4)
	v_add_f32_e32 v105, v108, v105
	v_dual_sub_f32 v63, v191, v63 :: v_dual_fmac_f32 v220, 0xbf3f9e67, v48
	v_fma_f32 v48, 0x3f116cb1, v61, -v149
	v_add_f32_e32 v127, v128, v127
	v_fma_f32 v128, 0xbf788fa5, v57, -v134
	v_add_f32_e32 v104, v105, v104
	v_fmac_f32_e32 v228, 0x3f62ad3f, v50
	v_fmac_f32_e32 v134, 0xbf788fa5, v57
	v_add_f32_e32 v108, v110, v116
	v_dual_add_f32 v128, v128, v127 :: v_dual_add_f32 v127, v158, v126
	v_add_f32_e32 v103, v104, v103
	v_dual_add_f32 v88, v88, v200 :: v_dual_fmac_f32 v229, 0xbeb58ec6, v46
	s_delay_alu instid0(VALU_DEP_3) | instskip(SKIP_4) | instid1(VALU_DEP_4)
	v_add_f32_e32 v126, v159, v128
	v_add_f32_e32 v128, v131, v130
	;; [unrolled: 1-line block ×3, first 2 shown]
	v_sub_f32_e32 v148, v182, v153
	v_add_f32_e32 v131, v154, v155
	v_dual_add_f32 v144, v144, v175 :: v_dual_add_f32 v129, v129, v128
	s_delay_alu instid0(VALU_DEP_4) | instskip(NEXT) | instid1(VALU_DEP_3)
	v_add_f32_e32 v130, v45, v130
	v_dual_add_f32 v116, v123, v173 :: v_dual_add_f32 v131, v148, v131
	v_sub_f32_e32 v148, v188, v152
	v_add_f32_e32 v105, v108, v115
	s_delay_alu instid0(VALU_DEP_4) | instskip(SKIP_1) | instid1(VALU_DEP_3)
	v_add_f32_e32 v130, v144, v130
	v_dual_add_f32 v144, v145, v181 :: v_dual_sub_f32 v145, v196, v151
	v_dual_add_f32 v131, v148, v131 :: v_dual_add_f32 v104, v105, v114
	v_dual_add_f32 v102, v103, v102 :: v_dual_fmac_f32 v211, 0xbeb58ec6, v57
	v_add_f32_e32 v115, v122, v179
	s_delay_alu instid0(VALU_DEP_3) | instskip(SKIP_3) | instid1(VALU_DEP_3)
	v_dual_add_f32 v128, v145, v131 :: v_dual_add_f32 v131, v139, v138
	v_dual_sub_f32 v138, v186, v142 :: v_dual_add_f32 v139, v147, v195
	v_add_f32_e32 v130, v144, v130
	v_dual_add_f32 v103, v104, v113 :: v_dual_add_f32 v100, v102, v100
	v_dual_add_f32 v131, v138, v131 :: v_dual_add_f32 v104, v119, v185
	s_delay_alu instid0(VALU_DEP_3) | instskip(NEXT) | instid1(VALU_DEP_3)
	v_dual_fmac_f32 v215, 0x3df6dbef, v59 :: v_dual_add_f32 v130, v140, v130
	v_add_f32_e32 v102, v103, v111
	s_delay_alu instid0(VALU_DEP_3) | instskip(SKIP_1) | instid1(VALU_DEP_4)
	v_add_f32_e32 v112, v132, v131
	v_sub_f32_e32 v132, v203, v133
	v_dual_add_f32 v97, v100, v97 :: v_dual_add_f32 v130, v139, v130
	s_delay_alu instid0(VALU_DEP_4) | instskip(SKIP_1) | instid1(VALU_DEP_3)
	v_dual_add_f32 v100, v102, v109 :: v_dual_fmac_f32 v221, 0x3f116cb1, v50
	v_sub_f32_e32 v140, v226, v150
	v_add_f32_e32 v97, v97, v98
	s_delay_alu instid0(VALU_DEP_4) | instskip(SKIP_4) | instid1(VALU_DEP_4)
	v_dual_add_f32 v131, v135, v130 :: v_dual_add_f32 v130, v132, v112
	v_sub_f32_e32 v112, v166, v124
	v_add_f32_e32 v98, v100, v107
	v_dual_sub_f32 v108, v172, v121 :: v_dual_fmac_f32 v201, 0xbf788fa5, v46
	v_add_f32_e32 v128, v140, v128
	v_add_f32_e32 v112, v44, v112
	v_dual_add_f32 v110, v45, v117 :: v_dual_fmac_f32 v213, 0xbf3f9e67, v46
	v_fmac_f32_e32 v171, 0x3df6dbef, v55
	v_fmac_f32_e32 v223, 0xbf788fa5, v55
	s_delay_alu instid0(VALU_DEP_4) | instskip(NEXT) | instid1(VALU_DEP_4)
	v_add_f32_e32 v105, v108, v112
	v_add_f32_e32 v110, v116, v110
	v_sub_f32_e32 v108, v178, v120
	v_dual_add_f32 v46, v44, v213 :: v_dual_fmac_f32 v227, 0xbeb58ec6, v59
	s_delay_alu instid0(VALU_DEP_3) | instskip(NEXT) | instid1(VALU_DEP_3)
	v_dual_fmac_f32 v137, 0x3f116cb1, v59 :: v_dual_add_f32 v110, v115, v110
	v_add_f32_e32 v105, v108, v105
	v_sub_f32_e32 v108, v184, v118
	s_delay_alu instid0(VALU_DEP_3) | instskip(NEXT) | instid1(VALU_DEP_1)
	v_add_f32_e32 v103, v104, v110
	v_dual_add_f32 v104, v108, v105 :: v_dual_add_f32 v87, v87, v103
	s_delay_alu instid0(VALU_DEP_1) | instskip(SKIP_4) | instid1(VALU_DEP_3)
	v_dual_add_f32 v100, v63, v104 :: v_dual_add_f32 v63, v88, v87
	v_add_f32_e32 v87, v97, v99
	v_add_f32_e32 v97, v98, v106
	v_fma_f32 v99, 0x3df6dbef, v49, -v212
	v_fma_f32 v98, 0xbf788fa5, v47, -v189
	v_dual_add_f32 v88, v87, v96 :: v_dual_add_f32 v87, v97, v101
	v_fma_f32 v97, 0x3f62ad3f, v49, -v194
	s_delay_alu instid0(VALU_DEP_3)
	v_add_f32_e32 v96, v45, v98
	v_add_f32_e32 v98, v44, v201
	;; [unrolled: 1-line block ×4, first 2 shown]
	v_fma_f32 v87, 0xbf3f9e67, v47, -v209
	v_fma_f32 v47, 0xbeb58ec6, v47, -v222
	s_delay_alu instid0(VALU_DEP_2) | instskip(NEXT) | instid1(VALU_DEP_2)
	v_dual_add_f32 v44, v220, v44 :: v_dual_add_f32 v87, v45, v87
	v_add_f32_e32 v45, v45, v47
	v_fma_f32 v47, 0xbf3f9e67, v49, -v224
	s_delay_alu instid0(VALU_DEP_3) | instskip(SKIP_1) | instid1(VALU_DEP_3)
	v_dual_add_f32 v44, v228, v44 :: v_dual_add_f32 v87, v99, v87
	v_fma_f32 v99, 0x3f116cb1, v54, -v216
	v_add_f32_e32 v45, v47, v45
	v_fma_f32 v47, 0x3f62ad3f, v54, -v136
	s_delay_alu instid0(VALU_DEP_4) | instskip(NEXT) | instid1(VALU_DEP_4)
	v_add_f32_e32 v44, v171, v44
	v_dual_fmac_f32 v206, 0xbf3f9e67, v50 :: v_dual_add_f32 v87, v99, v87
	v_fma_f32 v99, 0xbf788fa5, v56, -v214
	s_delay_alu instid0(VALU_DEP_4) | instskip(NEXT) | instid1(VALU_DEP_4)
	v_add_f32_e32 v45, v47, v45
	v_add_f32_e32 v49, v134, v44
	v_fma_f32 v47, 0x3df6dbef, v56, -v141
	s_delay_alu instid0(VALU_DEP_4) | instskip(SKIP_2) | instid1(VALU_DEP_4)
	v_dual_add_f32 v96, v97, v96 :: v_dual_add_f32 v99, v99, v87
	v_dual_sub_f32 v62, v199, v62 :: v_dual_add_f32 v87, v60, v51
	v_fma_f32 v60, 0xbeb58ec6, v61, -v225
	v_add_f32_e32 v45, v47, v45
	v_fma_f32 v47, 0xbf788fa5, v58, -v143
	s_delay_alu instid0(VALU_DEP_4)
	v_add_f32_e32 v62, v62, v100
	v_fma_f32 v100, 0x3f62ad3f, v58, -v219
	v_add_f32_e32 v98, v204, v98
	v_lshl_add_u32 v50, v89, 3, v91
	v_add_f32_e32 v47, v47, v45
	v_fma_f32 v97, 0xbf3f9e67, v54, -v198
	s_delay_alu instid0(VALU_DEP_4)
	v_dual_add_f32 v51, v100, v99 :: v_dual_add_f32 v98, v206, v98
	ds_store_b64 v90, v[87:88]
	v_dual_add_f32 v47, v48, v47 :: v_dual_add_f32 v96, v97, v96
	v_add_f32_e32 v45, v60, v51
	v_add_nc_u32_e32 v51, 0x1000, v50
	v_add_f32_e32 v46, v218, v46
	v_fma_f32 v97, 0x3f116cb1, v56, -v202
	v_add_f32_e32 v98, v208, v98
	v_add_nc_u32_e32 v48, 0x400, v50
	ds_store_2addr_b64 v50, v[62:63], v[130:131] offset0:50 offset1:100
	v_add_f32_e32 v46, v221, v46
	v_add_f32_e32 v96, v97, v96
	v_fma_f32 v97, 0xbeb58ec6, v58, -v205
	v_add_f32_e32 v98, v211, v98
	s_delay_alu instid0(VALU_DEP_4) | instskip(NEXT) | instid1(VALU_DEP_3)
	v_add_f32_e32 v46, v223, v46
	v_add_f32_e32 v96, v97, v96
	v_fma_f32 v97, 0x3df6dbef, v61, -v210
	s_delay_alu instid0(VALU_DEP_3) | instskip(NEXT) | instid1(VALU_DEP_1)
	v_add_f32_e32 v46, v217, v46
	v_add_f32_e32 v44, v227, v46
	v_dual_add_f32 v46, v137, v49 :: v_dual_add_nc_u32 v49, 0x800, v50
	s_delay_alu instid0(VALU_DEP_4)
	v_dual_add_f32 v97, v97, v96 :: v_dual_add_f32 v96, v215, v98
	ds_store_2addr_b64 v50, v[128:129], v[126:127] offset0:150 offset1:200
	ds_store_2addr_b64 v48, v[164:165], v[162:163] offset0:122 offset1:172
	;; [unrolled: 1-line block ×5, first 2 shown]
.LBB0_5:
	s_wait_alu 0xfffe
	s_or_b32 exec_lo, exec_lo, s0
	s_add_nc_u64 s[0:1], s[8:9], 0x1450
	global_wb scope:SCOPE_SE
	s_wait_dscnt 0x0
	s_barrier_signal -1
	s_barrier_wait -1
	global_inv scope:SCOPE_SE
	s_clause 0x9
	global_load_b64 v[96:97], v[85:86], off offset:5200
	global_load_b64 v[98:99], v92, s[0:1] offset:520
	global_load_b64 v[100:101], v92, s[0:1] offset:1040
	;; [unrolled: 1-line block ×9, first 2 shown]
	ds_load_2addr_b64 v[44:47], v90 offset1:65
	v_add_nc_u32_e32 v54, 0x800, v90
	s_wait_loadcnt_dscnt 0x900
	v_dual_mul_f32 v117, v45, v97 :: v_dual_add_nc_u32 v92, 0x1000, v90
	ds_load_2addr_b64 v[48:51], v90 offset0:130 offset1:195
	ds_load_2addr_b64 v[55:58], v54 offset0:4 offset1:69
	s_wait_loadcnt 0x8
	v_dual_mul_f32 v116, v44, v97 :: v_dual_mul_f32 v97, v46, v99
	ds_load_2addr_b64 v[59:62], v54 offset0:134 offset1:199
	ds_load_2addr_b64 v[85:88], v92 offset0:8 offset1:73
	v_mul_f32_e32 v118, v47, v99
	v_fmac_f32_e32 v97, v47, v98
	s_wait_loadcnt_dscnt 0x703
	v_mul_f32_e32 v119, v49, v101
	s_wait_loadcnt 0x6
	v_dual_mul_f32 v99, v48, v101 :: v_dual_mul_f32 v120, v51, v103
	v_mul_f32_e32 v101, v50, v103
	s_wait_loadcnt_dscnt 0x402
	v_dual_mul_f32 v121, v56, v105 :: v_dual_mul_f32 v122, v58, v107
	s_wait_loadcnt_dscnt 0x201
	v_dual_mul_f32 v103, v55, v105 :: v_dual_mul_f32 v124, v62, v111
	v_mul_f32_e32 v105, v57, v107
	v_dual_mul_f32 v123, v60, v109 :: v_dual_fmac_f32 v116, v45, v96
	v_mul_f32_e32 v107, v59, v109
	v_mul_f32_e32 v109, v61, v111
	s_wait_loadcnt_dscnt 0x100
	v_mul_f32_e32 v125, v86, v113
	v_mul_f32_e32 v63, v85, v113
	s_wait_loadcnt 0x0
	v_mul_f32_e32 v113, v88, v115
	v_mul_f32_e32 v111, v87, v115
	v_fma_f32 v115, v44, v96, -v117
	v_fma_f32 v96, v46, v98, -v118
	;; [unrolled: 1-line block ×3, first 2 shown]
	v_fmac_f32_e32 v99, v49, v100
	v_fma_f32 v100, v50, v102, -v120
	v_fmac_f32_e32 v101, v51, v102
	v_fma_f32 v102, v55, v104, -v121
	;; [unrolled: 2-line block ×7, first 2 shown]
	v_fmac_f32_e32 v111, v88, v114
	ds_store_2addr_b64 v90, v[115:116], v[96:97] offset1:65
	ds_store_2addr_b64 v90, v[98:99], v[100:101] offset0:130 offset1:195
	ds_store_2addr_b64 v54, v[102:103], v[104:105] offset0:4 offset1:69
	;; [unrolled: 1-line block ×4, first 2 shown]
	global_wb scope:SCOPE_SE
	s_wait_dscnt 0x0
	s_barrier_signal -1
	s_barrier_wait -1
	global_inv scope:SCOPE_SE
	ds_load_2addr_b64 v[44:47], v90 offset1:65
	ds_load_2addr_b64 v[48:51], v90 offset0:130 offset1:195
	ds_load_2addr_b64 v[55:58], v54 offset0:4 offset1:69
	;; [unrolled: 1-line block ×4, first 2 shown]
	global_wb scope:SCOPE_SE
	s_wait_dscnt 0x0
	s_barrier_signal -1
	s_barrier_wait -1
	global_inv scope:SCOPE_SE
	v_dual_add_f32 v104, v45, v49 :: v_dual_sub_f32 v99, v48, v55
	v_add_f32_e32 v96, v55, v59
	v_dual_sub_f32 v100, v85, v59 :: v_dual_add_f32 v101, v48, v85
	v_sub_f32_e32 v102, v55, v48
	v_dual_sub_f32 v103, v59, v85 :: v_dual_sub_f32 v124, v88, v62
	v_dual_add_f32 v63, v44, v48 :: v_dual_sub_f32 v114, v58, v62
	v_sub_f32_e32 v118, v57, v50
	v_sub_f32_e32 v119, v61, v87
	v_add_f32_e32 v105, v56, v60
	v_dual_sub_f32 v97, v49, v86 :: v_dual_sub_f32 v126, v62, v88
	v_sub_f32_e32 v98, v56, v60
	v_sub_f32_e32 v48, v48, v85
	;; [unrolled: 1-line block ×3, first 2 shown]
	v_dual_sub_f32 v108, v86, v60 :: v_dual_add_f32 v109, v49, v86
	v_dual_add_f32 v120, v47, v51 :: v_dual_sub_f32 v107, v49, v56
	v_add_f32_e32 v55, v63, v55
	v_fma_f32 v63, -0.5, v96, v44
	v_add_f32_e32 v96, v99, v100
	v_fma_f32 v99, -0.5, v101, v44
	v_sub_f32_e32 v49, v56, v49
	v_add_f32_e32 v56, v104, v56
	v_add_f32_e32 v104, v118, v119
	v_fma_f32 v100, -0.5, v105, v45
	v_sub_f32_e32 v110, v60, v86
	s_delay_alu instid0(VALU_DEP_4) | instskip(NEXT) | instid1(VALU_DEP_3)
	v_dual_add_f32 v111, v46, v50 :: v_dual_add_f32 v56, v56, v60
	v_dual_sub_f32 v113, v51, v88 :: v_dual_fmamk_f32 v60, v48, 0x3f737871, v100
	v_add_f32_e32 v117, v50, v87
	v_add_f32_e32 v121, v58, v62
	v_dual_add_f32 v125, v51, v88 :: v_dual_add_f32 v44, v102, v103
	v_fma_f32 v102, -0.5, v109, v45
	v_sub_f32_e32 v115, v50, v57
	v_dual_sub_f32 v50, v50, v87 :: v_dual_sub_f32 v123, v51, v58
	v_dual_sub_f32 v51, v58, v51 :: v_dual_add_f32 v56, v56, v86
	v_add_f32_e32 v58, v120, v58
	v_fmac_f32_e32 v100, 0xbf737871, v48
	v_dual_add_f32 v101, v107, v108 :: v_dual_fmamk_f32 v108, v98, 0x3f737871, v99
	v_add_f32_e32 v112, v57, v61
	v_sub_f32_e32 v122, v57, v61
	s_delay_alu instid0(VALU_DEP_4)
	v_fmac_f32_e32 v100, 0xbf167918, v106
	v_add_f32_e32 v58, v58, v62
	v_fmac_f32_e32 v108, 0xbf167918, v97
	v_fma_f32 v105, -0.5, v121, v47
	v_dual_fmac_f32 v47, -0.5, v125 :: v_dual_fmac_f32 v60, 0x3f167918, v106
	v_add_f32_e32 v55, v55, v59
	v_fmamk_f32 v109, v106, 0xbf737871, v102
	v_fmac_f32_e32 v102, 0x3f737871, v106
	v_dual_add_f32 v45, v49, v110 :: v_dual_fmamk_f32 v62, v50, 0x3f737871, v105
	v_add_f32_e32 v49, v111, v57
	v_fma_f32 v57, -0.5, v112, v46
	v_fma_f32 v46, -0.5, v117, v46
	v_fmac_f32_e32 v108, 0x3e9e377a, v44
	v_fmac_f32_e32 v62, 0x3f167918, v122
	;; [unrolled: 1-line block ×3, first 2 shown]
	v_fmamk_f32 v111, v122, 0xbf737871, v47
	v_fmamk_f32 v110, v114, 0x3f737871, v46
	v_fmac_f32_e32 v46, 0xbf737871, v114
	v_add_f32_e32 v51, v51, v126
	s_delay_alu instid0(VALU_DEP_4) | instskip(NEXT) | instid1(VALU_DEP_4)
	v_dual_sub_f32 v116, v87, v61 :: v_dual_fmac_f32 v111, 0x3f167918, v50
	v_dual_add_f32 v107, v123, v124 :: v_dual_fmac_f32 v110, 0xbf167918, v113
	v_dual_add_f32 v49, v49, v61 :: v_dual_fmac_f32 v102, 0xbf167918, v48
	v_fmac_f32_e32 v46, 0x3f167918, v113
	s_delay_alu instid0(VALU_DEP_4) | instskip(SKIP_2) | instid1(VALU_DEP_4)
	v_fmac_f32_e32 v111, 0x3e9e377a, v51
	v_fmac_f32_e32 v99, 0xbf737871, v98
	v_dual_add_f32 v55, v55, v85 :: v_dual_fmac_f32 v110, 0x3e9e377a, v104
	v_fmac_f32_e32 v46, 0x3e9e377a, v104
	v_dual_add_f32 v103, v115, v116 :: v_dual_fmac_f32 v102, 0x3e9e377a, v45
	v_dual_fmac_f32 v109, 0x3f167918, v48 :: v_dual_add_f32 v48, v49, v87
	v_fmamk_f32 v59, v97, 0xbf737871, v63
	v_fmac_f32_e32 v63, 0x3f737871, v97
	v_mul_f32_e32 v86, 0xbf737871, v111
	v_fmac_f32_e32 v99, 0x3f167918, v97
	v_mul_f32_e32 v97, 0x3e9e377a, v111
	v_fmac_f32_e32 v109, 0x3e9e377a, v45
	v_dual_add_f32 v49, v58, v88 :: v_dual_fmac_f32 v100, 0x3e9e377a, v101
	s_delay_alu instid0(VALU_DEP_4) | instskip(NEXT) | instid1(VALU_DEP_4)
	v_fmac_f32_e32 v99, 0x3e9e377a, v44
	v_fmac_f32_e32 v97, 0x3f737871, v110
	;; [unrolled: 1-line block ×3, first 2 shown]
	v_dual_fmac_f32 v105, 0xbf737871, v50 :: v_dual_add_f32 v44, v55, v48
	v_fmac_f32_e32 v86, 0x3e9e377a, v110
	v_fmac_f32_e32 v62, 0x3e9e377a, v107
	s_delay_alu instid0(VALU_DEP_4) | instskip(SKIP_1) | instid1(VALU_DEP_4)
	v_dual_fmac_f32 v47, 0xbf167918, v50 :: v_dual_sub_f32 v50, v55, v48
	v_fmac_f32_e32 v63, 0x3f167918, v98
	v_add_f32_e32 v55, v108, v86
	s_delay_alu instid0(VALU_DEP_4) | instskip(NEXT) | instid1(VALU_DEP_4)
	v_mul_f32_e32 v85, 0xbf167918, v62
	v_fmac_f32_e32 v47, 0x3e9e377a, v51
	v_add_f32_e32 v45, v56, v49
	v_sub_f32_e32 v51, v56, v49
	v_dual_add_f32 v56, v109, v97 :: v_dual_fmac_f32 v105, 0xbf167918, v122
	v_fmac_f32_e32 v63, 0x3e9e377a, v96
	v_fmamk_f32 v61, v113, 0xbf737871, v57
	v_mul_f32_e32 v87, 0xbf737871, v47
	s_delay_alu instid0(VALU_DEP_4)
	v_fmac_f32_e32 v105, 0x3e9e377a, v107
	v_fmac_f32_e32 v59, 0xbf167918, v98
	v_mul_f32_e32 v98, 0xbe9e377a, v47
	v_fmac_f32_e32 v57, 0x3f737871, v113
	v_fmac_f32_e32 v87, 0xbe9e377a, v46
	v_mul_f32_e32 v88, 0xbf167918, v105
	v_mul_f32_e32 v101, 0xbf4f1bbd, v105
	v_fmac_f32_e32 v98, 0x3f737871, v46
	v_fmac_f32_e32 v57, 0x3f167918, v114
	;; [unrolled: 1-line block ×3, first 2 shown]
	s_delay_alu instid0(VALU_DEP_2) | instskip(NEXT) | instid1(VALU_DEP_1)
	v_fmac_f32_e32 v57, 0x3e9e377a, v103
	v_fmac_f32_e32 v88, 0xbf4f1bbd, v57
	v_fmac_f32_e32 v101, 0x3f167918, v57
	v_add_f32_e32 v57, v99, v87
	s_delay_alu instid0(VALU_DEP_3) | instskip(NEXT) | instid1(VALU_DEP_3)
	v_dual_add_f32 v48, v63, v88 :: v_dual_fmac_f32 v61, 0xbf167918, v114
	v_add_f32_e32 v49, v100, v101
	s_delay_alu instid0(VALU_DEP_2) | instskip(NEXT) | instid1(VALU_DEP_1)
	v_dual_fmac_f32 v61, 0x3e9e377a, v103 :: v_dual_add_f32 v58, v102, v98
	v_mul_f32_e32 v96, 0x3f167918, v61
	v_fmac_f32_e32 v85, 0x3f4f1bbd, v61
	v_sub_f32_e32 v61, v108, v86
	v_sub_f32_e32 v86, v102, v98
	s_delay_alu instid0(VALU_DEP_4) | instskip(NEXT) | instid1(VALU_DEP_4)
	v_fmac_f32_e32 v96, 0x3f4f1bbd, v62
	v_add_f32_e32 v46, v59, v85
	v_sub_f32_e32 v59, v59, v85
	v_dual_sub_f32 v62, v109, v97 :: v_dual_sub_f32 v85, v99, v87
	s_delay_alu instid0(VALU_DEP_4)
	v_add_f32_e32 v47, v60, v96
	v_sub_f32_e32 v60, v60, v96
	v_dual_sub_f32 v87, v63, v88 :: v_dual_sub_f32 v88, v100, v101
	ds_store_b128 v93, v[44:47]
	ds_store_b128 v93, v[55:58] offset:16
	ds_store_b128 v93, v[48:51] offset:32
	ds_store_b128 v93, v[59:62] offset:48
	ds_store_b128 v93, v[85:88] offset:64
	global_wb scope:SCOPE_SE
	s_wait_dscnt 0x0
	s_barrier_signal -1
	s_barrier_wait -1
	global_inv scope:SCOPE_SE
	ds_load_2addr_b64 v[48:51], v90 offset0:130 offset1:195
	ds_load_2addr_b64 v[55:58], v54 offset0:4 offset1:69
	;; [unrolled: 1-line block ×4, first 2 shown]
	ds_load_2addr_b64 v[44:47], v90 offset1:65
	global_wb scope:SCOPE_SE
	s_wait_dscnt 0x0
	s_barrier_signal -1
	s_barrier_wait -1
	global_inv scope:SCOPE_SE
	v_mul_f32_e32 v97, v5, v51
	v_mul_f32_e32 v5, v5, v50
	;; [unrolled: 1-line block ×8, first 2 shown]
	v_dual_fmac_f32 v96, v10, v85 :: v_dual_fmac_f32 v97, v4, v50
	v_fma_f32 v4, v4, v51, -v5
	v_fmac_f32_e32 v98, v6, v57
	v_fma_f32 v5, v6, v58, -v7
	v_fmac_f32_e32 v99, v0, v61
	v_fma_f32 v0, v0, v62, -v1
	v_dual_add_f32 v62, v46, v97 :: v_dual_mul_f32 v93, v9, v60
	v_mul_f32_e32 v100, v3, v88
	v_mul_f32_e32 v3, v3, v87
	v_fma_f32 v10, v10, v86, -v11
	s_delay_alu instid0(VALU_DEP_4) | instskip(SKIP_1) | instid1(VALU_DEP_4)
	v_dual_sub_f32 v86, v5, v0 :: v_dual_fmac_f32 v93, v8, v59
	v_mul_f32_e32 v92, v15, v56
	v_fma_f32 v11, v2, v88, -v3
	v_dual_sub_f32 v107, v4, v5 :: v_dual_fmac_f32 v100, v2, v87
	s_delay_alu instid0(VALU_DEP_4) | instskip(SKIP_4) | instid1(VALU_DEP_4)
	v_sub_f32_e32 v6, v96, v93
	v_mul_f32_e32 v63, v13, v49
	v_dual_mul_f32 v13, v13, v48 :: v_dual_fmac_f32 v92, v14, v55
	v_dual_sub_f32 v85, v4, v11 :: v_dual_sub_f32 v108, v11, v0
	v_mul_f32_e32 v9, v9, v59
	v_fmac_f32_e32 v63, v12, v48
	s_delay_alu instid0(VALU_DEP_4) | instskip(SKIP_1) | instid1(VALU_DEP_4)
	v_fma_f32 v12, v12, v49, -v13
	v_dual_add_f32 v2, v92, v93 :: v_dual_add_f32 v101, v97, v100
	v_fma_f32 v49, v8, v60, -v9
	s_delay_alu instid0(VALU_DEP_4)
	v_sub_f32_e32 v9, v92, v63
	v_mul_f32_e32 v15, v15, v55
	v_sub_f32_e32 v55, v12, v10
	v_add_f32_e32 v7, v63, v96
	v_fma_f32 v8, -0.5, v2, v44
	v_sub_f32_e32 v57, v63, v96
	v_fma_f32 v13, v14, v56, -v15
	v_sub_f32_e32 v14, v93, v96
	v_fma_f32 v50, -0.5, v7, v44
	v_fmamk_f32 v2, v55, 0xbf737871, v8
	v_fmac_f32_e32 v8, 0x3f737871, v55
	v_sub_f32_e32 v56, v13, v49
	v_dual_add_f32 v48, v13, v49 :: v_dual_add_f32 v1, v44, v63
	v_add_f32_e32 v44, v9, v14
	v_sub_f32_e32 v58, v92, v93
	s_delay_alu instid0(VALU_DEP_4) | instskip(NEXT) | instid1(VALU_DEP_4)
	v_fmac_f32_e32 v8, 0x3f167918, v56
	v_fma_f32 v9, -0.5, v48, v45
	v_dual_fmamk_f32 v48, v56, 0x3f737871, v50 :: v_dual_sub_f32 v3, v63, v92
	v_dual_fmac_f32 v2, 0xbf167918, v56 :: v_dual_add_f32 v63, v98, v99
	v_add_f32_e32 v1, v1, v92
	s_delay_alu instid0(VALU_DEP_3) | instskip(SKIP_1) | instid1(VALU_DEP_4)
	v_dual_add_f32 v15, v45, v12 :: v_dual_add_f32 v92, v3, v6
	v_add_f32_e32 v6, v62, v98
	v_fma_f32 v14, -0.5, v63, v46
	v_fma_f32 v46, -0.5, v101, v46
	s_delay_alu instid0(VALU_DEP_4)
	v_dual_sub_f32 v51, v12, v13 :: v_dual_fmac_f32 v2, 0x3e9e377a, v92
	v_add_f32_e32 v60, v12, v10
	v_sub_f32_e32 v12, v13, v12
	v_dual_add_f32 v104, v47, v4 :: v_dual_add_f32 v109, v4, v11
	v_sub_f32_e32 v4, v5, v4
	v_sub_f32_e32 v110, v0, v11
	v_add_f32_e32 v63, v6, v99
	v_fmamk_f32 v6, v86, 0x3f737871, v46
	v_fmac_f32_e32 v46, 0xbf737871, v86
	v_sub_f32_e32 v61, v49, v10
	v_dual_sub_f32 v59, v10, v49 :: v_dual_fmac_f32 v8, 0x3e9e377a, v92
	v_sub_f32_e32 v88, v100, v99
	s_delay_alu instid0(VALU_DEP_4) | instskip(NEXT) | instid1(VALU_DEP_4)
	v_fmac_f32_e32 v46, 0x3f167918, v85
	v_add_f32_e32 v12, v12, v61
	v_dual_add_f32 v61, v4, v110 :: v_dual_fmamk_f32 v4, v85, 0xbf737871, v14
	v_dual_fmac_f32 v14, 0x3f737871, v85 :: v_dual_add_f32 v105, v5, v0
	v_add_f32_e32 v5, v104, v5
	v_dual_add_f32 v1, v1, v93 :: v_dual_fmac_f32 v50, 0xbf737871, v56
	s_delay_alu instid0(VALU_DEP_3)
	v_dual_fmac_f32 v14, 0x3f167918, v86 :: v_dual_add_f32 v3, v15, v13
	v_fmac_f32_e32 v4, 0xbf167918, v86
	v_sub_f32_e32 v87, v97, v98
	v_add_f32_e32 v13, v51, v59
	v_fma_f32 v51, -0.5, v60, v45
	v_add_f32_e32 v62, v3, v49
	s_delay_alu instid0(VALU_DEP_4) | instskip(SKIP_1) | instid1(VALU_DEP_3)
	v_dual_sub_f32 v106, v98, v99 :: v_dual_add_f32 v45, v87, v88
	v_add_f32_e32 v87, v5, v0
	v_dual_add_f32 v0, v1, v96 :: v_dual_add_f32 v1, v62, v10
	v_add_f32_e32 v10, v63, v100
	s_delay_alu instid0(VALU_DEP_4) | instskip(SKIP_4) | instid1(VALU_DEP_4)
	v_fmac_f32_e32 v4, 0x3e9e377a, v45
	v_fmac_f32_e32 v50, 0x3f167918, v55
	v_dual_sub_f32 v102, v98, v97 :: v_dual_sub_f32 v97, v97, v100
	v_fmamk_f32 v49, v58, 0xbf737871, v51
	v_fmac_f32_e32 v51, 0x3f737871, v58
	v_fmac_f32_e32 v50, 0x3e9e377a, v44
	v_dual_fmac_f32 v6, 0xbf167918, v85 :: v_dual_sub_f32 v103, v99, v100
	v_fmamk_f32 v3, v57, 0x3f737871, v9
	v_dual_fmac_f32 v9, 0xbf737871, v57 :: v_dual_add_f32 v60, v107, v108
	v_fmac_f32_e32 v48, 0xbf167918, v55
	s_delay_alu instid0(VALU_DEP_4) | instskip(NEXT) | instid1(VALU_DEP_4)
	v_add_f32_e32 v59, v102, v103
	v_fmac_f32_e32 v3, 0x3f167918, v58
	s_delay_alu instid0(VALU_DEP_4)
	v_fmac_f32_e32 v9, 0xbf167918, v58
	v_fmac_f32_e32 v49, 0x3f167918, v57
	;; [unrolled: 1-line block ×5, first 2 shown]
	v_fma_f32 v15, -0.5, v105, v47
	v_fmac_f32_e32 v47, -0.5, v109
	v_dual_add_f32 v11, v87, v11 :: v_dual_fmac_f32 v48, 0x3e9e377a, v44
	v_fmac_f32_e32 v3, 0x3e9e377a, v13
	s_delay_alu instid0(VALU_DEP_4)
	v_fmamk_f32 v5, v97, 0x3f737871, v15
	v_fmac_f32_e32 v15, 0xbf737871, v97
	v_fmamk_f32 v7, v106, 0xbf737871, v47
	v_fmac_f32_e32 v47, 0x3f737871, v106
	v_fmac_f32_e32 v9, 0x3e9e377a, v13
	;; [unrolled: 1-line block ×7, first 2 shown]
	v_dual_fmac_f32 v51, 0x3e9e377a, v12 :: v_dual_fmac_f32 v14, 0x3e9e377a, v45
	v_fmac_f32_e32 v5, 0x3e9e377a, v60
	v_fmac_f32_e32 v15, 0x3e9e377a, v60
	;; [unrolled: 1-line block ×4, first 2 shown]
	ds_store_2addr_b64 v95, v[0:1], v[2:3] offset1:10
	ds_store_2addr_b64 v95, v[48:49], v[50:51] offset0:20 offset1:30
	ds_store_b64 v95, v[8:9] offset:320
	ds_store_2addr_b64 v94, v[10:11], v[4:5] offset1:10
	ds_store_2addr_b64 v94, v[6:7], v[46:47] offset0:20 offset1:30
	ds_store_b64 v94, v[14:15] offset:320
	global_wb scope:SCOPE_SE
	s_wait_dscnt 0x0
	s_barrier_signal -1
	s_barrier_wait -1
	global_inv scope:SCOPE_SE
	s_and_saveexec_b32 s0, vcc_lo
	s_cbranch_execz .LBB0_7
; %bb.6:
	ds_load_2addr_b64 v[0:3], v90 offset1:50
	ds_load_2addr_b64 v[12:15], v54 offset0:144 offset1:194
	s_wait_dscnt 0x0
	v_dual_mov_b32 v47, v13 :: v_dual_add_nc_u32 v40, 0xc00, v90
	ds_load_2addr_b64 v[48:51], v90 offset0:100 offset1:150
	ds_load_2addr_b64 v[8:11], v90 offset0:200 offset1:250
	;; [unrolled: 1-line block ×3, first 2 shown]
	ds_load_b64 v[52:53], v90 offset:4800
	ds_load_2addr_b64 v[40:43], v40 offset0:116 offset1:166
	v_mov_b32_e32 v46, v12
.LBB0_7:
	s_wait_alu 0xfffe
	s_or_b32 exec_lo, exec_lo, s0
	s_and_saveexec_b32 s0, vcc_lo
	s_cbranch_execz .LBB0_9
; %bb.8:
	s_wait_dscnt 0x1
	v_dual_mul_f32 v12, v39, v52 :: v_dual_mul_f32 v13, v33, v2
	s_wait_dscnt 0x0
	v_dual_mul_f32 v45, v37, v42 :: v_dual_mul_f32 v54, v35, v48
	v_dual_mul_f32 v56, v33, v3 :: v_dual_mul_f32 v33, v39, v53
	s_delay_alu instid0(VALU_DEP_3) | instskip(SKIP_1) | instid1(VALU_DEP_4)
	v_fma_f32 v44, v38, v53, -v12
	v_fma_f32 v55, v32, v3, -v13
	;; [unrolled: 1-line block ×4, first 2 shown]
	v_dual_mul_f32 v49, v35, v49 :: v_dual_fmac_f32 v56, v32, v2
	v_mul_f32_e32 v35, v37, v43
	s_delay_alu instid0(VALU_DEP_3) | instskip(SKIP_1) | instid1(VALU_DEP_4)
	v_add_f32_e32 v37, v39, v45
	v_add_f32_e32 v53, v44, v55
	v_dual_fmac_f32 v49, v34, v48 :: v_dual_mul_f32 v48, v21, v11
	v_sub_f32_e32 v58, v45, v39
	s_delay_alu instid0(VALU_DEP_4) | instskip(NEXT) | instid1(VALU_DEP_4)
	v_mul_f32_e32 v32, 0x3f62ad3f, v37
	v_dual_mul_f32 v34, 0xbf788fa5, v53 :: v_dual_fmac_f32 v35, v36, v42
	v_mul_f32_e32 v36, v31, v40
	v_dual_fmac_f32 v33, v38, v52 :: v_dual_mul_f32 v38, v25, v50
	v_mul_f32_e32 v118, 0x3df6dbef, v53
	s_delay_alu instid0(VALU_DEP_4) | instskip(NEXT) | instid1(VALU_DEP_4)
	v_sub_f32_e32 v12, v49, v35
	v_fma_f32 v36, v30, v41, -v36
	s_delay_alu instid0(VALU_DEP_4)
	v_sub_f32_e32 v13, v56, v33
	v_fma_f32 v38, v24, v51, -v38
	v_mul_f32_e32 v31, v31, v41
	v_fmamk_f32 v3, v12, 0xbeedf032, v32
	v_mul_f32_e32 v101, 0x3f7e222b, v58
	v_fmamk_f32 v2, v13, 0x3e750f2a, v34
	v_dual_add_f32 v42, v36, v38 :: v_dual_mul_f32 v41, v27, v8
	v_fmac_f32_e32 v31, v30, v40
	v_sub_f32_e32 v62, v38, v36
	s_delay_alu instid0(VALU_DEP_4) | instskip(NEXT) | instid1(VALU_DEP_4)
	v_add_f32_e32 v2, v1, v2
	v_dual_mul_f32 v25, v25, v51 :: v_dual_mul_f32 v40, 0xbf3f9e67, v42
	v_fma_f32 v30, v26, v9, -v41
	v_mul_f32_e32 v97, 0x3f116cb1, v42
	s_delay_alu instid0(VALU_DEP_4)
	v_add_f32_e32 v2, v3, v2
	v_mul_f32_e32 v3, v29, v14
	v_mul_f32_e32 v29, v29, v15
	;; [unrolled: 1-line block ×5, first 2 shown]
	s_delay_alu instid0(VALU_DEP_4)
	v_dual_fmac_f32 v34, 0xbe750f2a, v13 :: v_dual_fmac_f32 v29, v28, v14
	v_mul_f32_e32 v14, v21, v10
	v_mul_f32_e32 v85, 0xbf29c268, v62
	;; [unrolled: 1-line block ×5, first 2 shown]
	v_fma_f32 v43, v20, v11, -v14
	v_mul_f32_e32 v27, v27, v9
	v_dual_mul_f32 v11, v17, v6 :: v_dual_mul_f32 v14, v23, v4
	v_mul_f32_e32 v142, 0xbe750f2a, v62
	s_delay_alu instid0(VALU_DEP_3)
	v_dual_mul_f32 v128, 0x3f6f5d39, v62 :: v_dual_fmac_f32 v27, v26, v8
	v_fmac_f32_e32 v25, v24, v50
	v_fma_f32 v24, v28, v15, -v3
	v_mul_f32_e32 v3, v19, v46
	v_fma_f32 v52, v16, v7, -v11
	v_fma_f32 v54, v22, v5, -v14
	v_fmac_f32_e32 v48, v20, v10
	v_add_f32_e32 v41, v24, v30
	v_fma_f32 v26, v18, v47, -v3
	v_mul_f32_e32 v47, v19, v47
	v_add_f32_e32 v59, v52, v54
	s_delay_alu instid0(VALU_DEP_4) | instskip(NEXT) | instid1(VALU_DEP_4)
	v_dual_sub_f32 v51, v55, v44 :: v_dual_mul_f32 v28, 0x3f116cb1, v41
	v_add_f32_e32 v50, v26, v43
	s_delay_alu instid0(VALU_DEP_4) | instskip(SKIP_2) | instid1(VALU_DEP_4)
	v_fmac_f32_e32 v47, v18, v46
	v_dual_add_f32 v11, v33, v56 :: v_dual_sub_f32 v92, v43, v26
	v_add_f32_e32 v14, v35, v49
	v_mul_f32_e32 v46, 0xbeb58ec6, v50
	v_dual_sub_f32 v8, v27, v29 :: v_dual_sub_f32 v9, v25, v31
	v_mul_f32_e32 v88, 0x3df6dbef, v59
	v_dual_mul_f32 v57, 0xbe750f2a, v51 :: v_dual_sub_f32 v86, v30, v24
	s_delay_alu instid0(VALU_DEP_3) | instskip(NEXT) | instid1(VALU_DEP_4)
	v_fmamk_f32 v3, v8, 0xbf52af12, v28
	v_fmamk_f32 v15, v9, 0x3f29c268, v40
	v_mul_f32_e32 v63, v17, v7
	v_fmamk_f32 v7, v14, 0x3f62ad3f, v60
	v_mul_f32_e32 v94, 0xbf3f9e67, v53
	v_mul_f32_e32 v61, v23, v5
	v_add_f32_e32 v2, v15, v2
	v_fmamk_f32 v15, v11, 0xbf788fa5, v57
	s_delay_alu instid0(VALU_DEP_4) | instskip(NEXT) | instid1(VALU_DEP_3)
	v_dual_fmac_f32 v63, v16, v6 :: v_dual_fmamk_f32 v6, v13, 0x3f29c268, v94
	v_dual_fmac_f32 v61, v22, v4 :: v_dual_add_f32 v2, v3, v2
	s_delay_alu instid0(VALU_DEP_3) | instskip(SKIP_2) | instid1(VALU_DEP_3)
	v_add_f32_e32 v5, v0, v15
	v_mul_f32_e32 v107, 0x3eedf032, v92
	v_dual_add_f32 v15, v31, v25 :: v_dual_sub_f32 v96, v54, v52
	v_dual_add_f32 v17, v29, v27 :: v_dual_add_f32 v4, v7, v5
	v_add_f32_e32 v18, v47, v48
	v_sub_f32_e32 v10, v48, v47
	s_delay_alu instid0(VALU_DEP_4)
	v_mul_f32_e32 v98, 0x3f7e222b, v96
	v_fmamk_f32 v5, v15, 0xbf3f9e67, v85
	v_mul_f32_e32 v87, 0x3f52af12, v86
	v_fmamk_f32 v21, v18, 0x3f62ad3f, v107
	v_mul_f32_e32 v99, 0xbf29c268, v51
	v_dual_fmamk_f32 v3, v10, 0x3f6f5d39, v46 :: v_dual_sub_f32 v16, v61, v63
	v_add_f32_e32 v4, v5, v4
	v_mul_f32_e32 v93, 0xbf6f5d39, v92
	s_delay_alu instid0(VALU_DEP_4) | instskip(SKIP_2) | instid1(VALU_DEP_3)
	v_dual_fmamk_f32 v7, v11, 0xbf3f9e67, v99 :: v_dual_mul_f32 v108, 0xbf3f9e67, v37
	v_fmamk_f32 v20, v14, 0x3df6dbef, v101
	v_dual_add_f32 v2, v3, v2 :: v_dual_fmamk_f32 v3, v16, 0xbf7e222b, v88
	v_add_f32_e32 v7, v0, v7
	v_fmamk_f32 v5, v17, 0x3f116cb1, v87
	v_mul_f32_e32 v106, 0xbeb58ec6, v53
	v_mul_f32_e32 v140, 0x3df6dbef, v50
	v_dual_add_f32 v3, v3, v2 :: v_dual_mul_f32 v100, 0xbf788fa5, v41
	s_delay_alu instid0(VALU_DEP_4) | instskip(SKIP_1) | instid1(VALU_DEP_4)
	v_dual_add_f32 v4, v5, v4 :: v_dual_fmamk_f32 v5, v18, 0xbeb58ec6, v93
	v_mul_f32_e32 v102, 0x3f62ad3f, v50
	v_fmamk_f32 v143, v10, 0xbf7e222b, v140
	v_mul_f32_e32 v130, 0x3f116cb1, v53
	v_dual_mul_f32 v110, 0xbf6f5d39, v96 :: v_dual_mul_f32 v111, 0xbf6f5d39, v51
	v_add_f32_e32 v2, v5, v4
	v_dual_add_f32 v4, v1, v6 :: v_dual_add_f32 v19, v63, v61
	v_mul_f32_e32 v95, 0x3df6dbef, v37
	v_mul_f32_e32 v53, 0x3f62ad3f, v53
	;; [unrolled: 1-line block ×3, first 2 shown]
	v_fmamk_f32 v132, v13, 0x3f52af12, v130
	v_fmamk_f32 v6, v19, 0x3df6dbef, v98
	v_mul_f32_e32 v109, 0x3f62ad3f, v42
	v_fmamk_f32 v145, v13, 0x3eedf032, v53
	v_mul_f32_e32 v125, 0xbe750f2a, v58
	v_mul_f32_e32 v120, 0xbf788fa5, v37
	v_add_f32_e32 v2, v6, v2
	v_add_f32_e32 v6, v20, v7
	v_fmamk_f32 v20, v13, 0x3f6f5d39, v106
	v_fmamk_f32 v5, v12, 0xbf7e222b, v95
	v_fmamk_f32 v127, v14, 0xbf788fa5, v125
	v_mul_f32_e32 v113, 0x3f29c268, v58
	v_fmamk_f32 v7, v15, 0x3f116cb1, v103
	s_delay_alu instid0(VALU_DEP_4) | instskip(SKIP_1) | instid1(VALU_DEP_4)
	v_dual_mul_f32 v135, 0xbf52af12, v51 :: v_dual_add_f32 v4, v5, v4
	v_fmamk_f32 v5, v9, 0x3f52af12, v97
	v_dual_fmamk_f32 v22, v14, 0xbf3f9e67, v113 :: v_dual_add_f32 v55, v55, v1
	v_dual_mul_f32 v116, 0xbf7e222b, v86 :: v_dual_mul_f32 v123, 0xbf7e222b, v51
	s_delay_alu instid0(VALU_DEP_3)
	v_dual_add_f32 v4, v5, v4 :: v_dual_fmamk_f32 v5, v8, 0xbe750f2a, v100
	v_mul_f32_e32 v126, 0x3f116cb1, v50
	v_mul_f32_e32 v122, 0x3f52af12, v96
	;; [unrolled: 1-line block ×4, first 2 shown]
	v_dual_add_f32 v4, v5, v4 :: v_dual_fmamk_f32 v5, v10, 0xbeedf032, v102
	v_dual_fmamk_f32 v138, v11, 0x3f116cb1, v135 :: v_dual_add_f32 v45, v45, v55
	v_mul_f32_e32 v119, 0x3e750f2a, v92
	s_delay_alu instid0(VALU_DEP_4) | instskip(NEXT) | instid1(VALU_DEP_4)
	v_dual_fmamk_f32 v134, v18, 0x3f116cb1, v131 :: v_dual_mul_f32 v37, 0x3f116cb1, v37
	v_dual_add_f32 v4, v5, v4 :: v_dual_add_f32 v5, v7, v6
	v_fmamk_f32 v7, v16, 0x3f6f5d39, v105
	v_mul_f32_e32 v104, 0x3e750f2a, v86
	v_mul_f32_e32 v124, 0x3f62ad3f, v41
	v_dual_mul_f32 v129, 0xbf3f9e67, v59 :: v_dual_mul_f32 v136, 0xbf3f9e67, v41
	v_fmamk_f32 v141, v14, 0xbeb58ec6, v139
	s_delay_alu instid0(VALU_DEP_4) | instskip(SKIP_2) | instid1(VALU_DEP_3)
	v_fmamk_f32 v6, v17, 0xbf788fa5, v104
	v_dual_fmac_f32 v95, 0x3f7e222b, v12 :: v_dual_add_f32 v138, v0, v138
	v_dual_add_f32 v55, v0, v56 :: v_dual_add_f32 v38, v38, v45
	v_dual_add_f32 v6, v6, v5 :: v_dual_add_f32 v5, v7, v4
	v_fmamk_f32 v7, v12, 0xbf29c268, v108
	s_delay_alu instid0(VALU_DEP_3) | instskip(SKIP_1) | instid1(VALU_DEP_4)
	v_dual_add_f32 v45, v49, v55 :: v_dual_add_f32 v30, v30, v38
	v_mul_f32_e32 v38, 0xbf52af12, v58
	v_dual_add_f32 v6, v21, v6 :: v_dual_fmamk_f32 v21, v11, 0xbeb58ec6, v111
	s_delay_alu instid0(VALU_DEP_3) | instskip(SKIP_2) | instid1(VALU_DEP_4)
	v_dual_mul_f32 v51, 0xbeedf032, v51 :: v_dual_add_f32 v30, v43, v30
	v_mul_f32_e32 v43, 0xbf7e222b, v62
	v_add_f32_e32 v25, v25, v45
	v_dual_add_f32 v21, v0, v21 :: v_dual_add_f32 v4, v1, v20
	v_fmamk_f32 v20, v19, 0xbeb58ec6, v110
	s_delay_alu instid0(VALU_DEP_3) | instskip(NEXT) | instid1(VALU_DEP_3)
	v_dual_add_f32 v30, v54, v30 :: v_dual_add_f32 v25, v27, v25
	v_dual_fmamk_f32 v27, v14, 0x3f116cb1, v38 :: v_dual_add_f32 v4, v7, v4
	v_fmamk_f32 v7, v9, 0xbeedf032, v109
	s_delay_alu instid0(VALU_DEP_3) | instskip(SKIP_1) | instid1(VALU_DEP_3)
	v_dual_fmamk_f32 v55, v11, 0x3f62ad3f, v51 :: v_dual_add_f32 v30, v52, v30
	v_mul_f32_e32 v52, 0xbf29c268, v92
	v_dual_mul_f32 v45, 0xbf3f9e67, v50 :: v_dual_add_f32 v4, v7, v4
	v_mul_f32_e32 v112, 0x3df6dbef, v41
	s_delay_alu instid0(VALU_DEP_4) | instskip(SKIP_2) | instid1(VALU_DEP_4)
	v_dual_mul_f32 v41, 0xbeb58ec6, v41 :: v_dual_add_f32 v26, v26, v30
	v_fmac_f32_e32 v94, 0xbf29c268, v13
	v_mul_f32_e32 v54, 0xbf788fa5, v59
	v_fmamk_f32 v7, v8, 0x3f7e222b, v112
	v_fmac_f32_e32 v28, 0x3f52af12, v8
	v_add_f32_e32 v24, v24, v26
	v_fmac_f32_e32 v32, 0x3eedf032, v12
	s_delay_alu instid0(VALU_DEP_4)
	v_dual_fmamk_f32 v30, v16, 0x3e750f2a, v54 :: v_dual_add_f32 v7, v7, v4
	v_mul_f32_e32 v114, 0xbf788fa5, v50
	v_add_f32_e32 v4, v20, v6
	v_add_f32_e32 v6, v22, v21
	v_fmamk_f32 v20, v15, 0x3f62ad3f, v115
	v_fmamk_f32 v21, v16, 0xbf52af12, v117
	v_dual_fmamk_f32 v23, v10, 0xbe750f2a, v114 :: v_dual_add_f32 v50, v0, v55
	v_add_f32_e32 v24, v36, v24
	s_delay_alu instid0(VALU_DEP_4) | instskip(NEXT) | instid1(VALU_DEP_3)
	v_add_f32_e32 v6, v20, v6
	v_dual_fmamk_f32 v20, v17, 0x3df6dbef, v116 :: v_dual_add_f32 v7, v23, v7
	v_fmamk_f32 v23, v11, 0x3df6dbef, v123
	v_dual_fmamk_f32 v22, v13, 0x3f7e222b, v118 :: v_dual_add_f32 v27, v27, v50
	s_delay_alu instid0(VALU_DEP_3) | instskip(NEXT) | instid1(VALU_DEP_3)
	v_dual_add_f32 v6, v20, v6 :: v_dual_add_f32 v7, v21, v7
	v_add_f32_e32 v23, v0, v23
	s_delay_alu instid0(VALU_DEP_3) | instskip(SKIP_4) | instid1(VALU_DEP_4)
	v_dual_add_f32 v21, v1, v22 :: v_dual_fmamk_f32 v22, v12, 0x3e750f2a, v120
	v_fmamk_f32 v20, v18, 0xbf788fa5, v119
	v_dual_mul_f32 v50, 0xbf6f5d39, v86 :: v_dual_add_f32 v25, v48, v25
	v_fmamk_f32 v48, v15, 0x3df6dbef, v43
	v_fmac_f32_e32 v46, 0xbf6f5d39, v10
	v_add_f32_e32 v6, v20, v6
	v_dual_add_f32 v20, v22, v21 :: v_dual_fmamk_f32 v21, v9, 0xbf6f5d39, v121
	s_delay_alu instid0(VALU_DEP_4) | instskip(SKIP_2) | instid1(VALU_DEP_4)
	v_dual_add_f32 v27, v48, v27 :: v_dual_fmamk_f32 v48, v17, 0xbeb58ec6, v50
	v_add_f32_e32 v25, v61, v25
	v_fma_f32 v36, 0xbf788fa5, v18, -v119
	v_dual_add_f32 v20, v21, v20 :: v_dual_fmamk_f32 v21, v8, 0xbeedf032, v124
	s_delay_alu instid0(VALU_DEP_4) | instskip(NEXT) | instid1(VALU_DEP_4)
	v_dual_add_f32 v27, v48, v27 :: v_dual_fmamk_f32 v26, v18, 0xbf3f9e67, v52
	v_dual_add_f32 v25, v63, v25 :: v_dual_fmac_f32 v54, 0xbe750f2a, v16
	s_delay_alu instid0(VALU_DEP_3) | instskip(SKIP_1) | instid1(VALU_DEP_3)
	v_dual_add_f32 v20, v21, v20 :: v_dual_fmamk_f32 v21, v10, 0x3f52af12, v126
	v_fmamk_f32 v22, v19, 0x3f116cb1, v122
	v_dual_add_f32 v26, v26, v27 :: v_dual_add_f32 v25, v47, v25
	v_mul_f32_e32 v47, 0xbe750f2a, v96
	s_delay_alu instid0(VALU_DEP_4) | instskip(NEXT) | instid1(VALU_DEP_4)
	v_add_f32_e32 v20, v21, v20
	v_add_f32_e32 v6, v22, v6
	;; [unrolled: 1-line block ×3, first 2 shown]
	v_fmamk_f32 v23, v15, 0xbeb58ec6, v128
	v_mul_f32_e32 v127, 0x3eedf032, v86
	v_add_f32_e32 v29, v29, v25
	v_fmamk_f32 v27, v19, 0xbf788fa5, v47
	v_fmamk_f32 v55, v10, 0x3f29c268, v45
	s_delay_alu instid0(VALU_DEP_4) | instskip(SKIP_3) | instid1(VALU_DEP_3)
	v_dual_add_f32 v21, v23, v22 :: v_dual_fmamk_f32 v22, v17, 0x3f62ad3f, v127
	v_fmamk_f32 v23, v16, 0x3f29c268, v129
	v_dual_add_f32 v29, v31, v29 :: v_dual_fmac_f32 v100, 0x3e750f2a, v8
	v_fmac_f32_e32 v40, 0xbf29c268, v9
	v_dual_add_f32 v22, v22, v21 :: v_dual_add_f32 v21, v23, v20
	v_dual_add_f32 v20, v1, v132 :: v_dual_fmamk_f32 v23, v12, 0x3f6f5d39, v133
	v_mul_f32_e32 v132, 0xbf788fa5, v42
	s_delay_alu instid0(VALU_DEP_3) | instskip(SKIP_2) | instid1(VALU_DEP_4)
	v_add_f32_e32 v22, v134, v22
	v_mul_f32_e32 v134, 0xbf29c268, v96
	v_mul_f32_e32 v42, 0x3df6dbef, v42
	v_dual_add_f32 v20, v23, v20 :: v_dual_fmamk_f32 v23, v9, 0x3e750f2a, v132
	v_add_f32_e32 v29, v35, v29
	v_fma_f32 v35, 0xbf3f9e67, v14, -v113
	v_fmac_f32_e32 v124, 0x3eedf032, v8
	v_fmac_f32_e32 v88, 0x3f7e222b, v16
	v_dual_add_f32 v20, v23, v20 :: v_dual_fmamk_f32 v23, v8, 0xbf29c268, v136
	v_fmamk_f32 v137, v19, 0xbf3f9e67, v134
	v_fmac_f32_e32 v136, 0x3f29c268, v8
	v_fmac_f32_e32 v106, 0xbf6f5d39, v13
	s_delay_alu instid0(VALU_DEP_4) | instskip(NEXT) | instid1(VALU_DEP_4)
	v_dual_fmac_f32 v102, 0x3eedf032, v10 :: v_dual_add_f32 v23, v23, v20
	v_add_f32_e32 v20, v137, v22
	v_dual_add_f32 v22, v141, v138 :: v_dual_mul_f32 v141, 0x3f62ad3f, v59
	v_fmamk_f32 v137, v15, 0xbf788fa5, v142
	s_delay_alu instid0(VALU_DEP_4) | instskip(SKIP_1) | instid1(VALU_DEP_4)
	v_dual_mul_f32 v138, 0x3f29c268, v86 :: v_dual_add_f32 v23, v143, v23
	v_mul_f32_e32 v143, 0x3f7e222b, v92
	v_fmamk_f32 v144, v16, 0xbeedf032, v141
	s_delay_alu instid0(VALU_DEP_4) | instskip(NEXT) | instid1(VALU_DEP_4)
	v_add_f32_e32 v22, v137, v22
	v_fmamk_f32 v137, v17, 0xbf3f9e67, v138
	v_fmac_f32_e32 v130, 0xbf52af12, v13
	s_delay_alu instid0(VALU_DEP_4) | instskip(SKIP_1) | instid1(VALU_DEP_4)
	v_dual_fmac_f32 v132, 0xbe750f2a, v9 :: v_dual_add_f32 v23, v144, v23
	v_add_f32_e32 v144, v1, v145
	v_dual_add_f32 v22, v137, v22 :: v_dual_fmamk_f32 v137, v18, 0x3df6dbef, v143
	v_fmamk_f32 v145, v12, 0x3f52af12, v37
	v_dual_fmac_f32 v126, 0xbf52af12, v10 :: v_dual_fmac_f32 v37, 0xbf52af12, v12
	v_fmac_f32_e32 v114, 0x3e750f2a, v10
	s_delay_alu instid0(VALU_DEP_4) | instskip(NEXT) | instid1(VALU_DEP_4)
	v_dual_add_f32 v22, v137, v22 :: v_dual_mul_f32 v137, 0x3eedf032, v96
	v_add_f32_e32 v144, v145, v144
	v_fmamk_f32 v145, v9, 0x3f7e222b, v42
	v_fmac_f32_e32 v141, 0x3eedf032, v16
	v_fmac_f32_e32 v42, 0xbf7e222b, v9
	v_fmamk_f32 v146, v19, 0x3f62ad3f, v137
	v_fmac_f32_e32 v140, 0x3f7e222b, v10
	v_add_f32_e32 v56, v145, v144
	v_fmamk_f32 v144, v8, 0x3f6f5d39, v41
	s_delay_alu instid0(VALU_DEP_4) | instskip(SKIP_2) | instid1(VALU_DEP_4)
	v_dual_fmac_f32 v41, 0xbf6f5d39, v8 :: v_dual_add_f32 v22, v146, v22
	v_fmac_f32_e32 v109, 0x3eedf032, v9
	v_fmac_f32_e32 v117, 0x3f52af12, v16
	v_add_f32_e32 v49, v144, v56
	v_fmac_f32_e32 v112, 0xbf7e222b, v8
	v_fma_f32 v8, 0xbeb58ec6, v17, -v50
	v_fmac_f32_e32 v121, 0x3f6f5d39, v9
	v_fmac_f32_e32 v133, 0xbf6f5d39, v12
	v_add_f32_e32 v49, v55, v49
	v_fmac_f32_e32 v129, 0xbf29c268, v16
	v_fmac_f32_e32 v53, 0xbeedf032, v13
	;; [unrolled: 1-line block ×4, first 2 shown]
	v_dual_add_f32 v25, v30, v49 :: v_dual_add_f32 v30, v39, v24
	v_add_f32_e32 v24, v27, v26
	v_fma_f32 v26, 0xbf788fa5, v11, -v57
	v_fma_f32 v39, 0x3f116cb1, v19, -v122
	;; [unrolled: 1-line block ×3, first 2 shown]
	v_add_f32_e32 v27, v44, v30
	v_add_f32_e32 v30, v1, v34
	;; [unrolled: 1-line block ×3, first 2 shown]
	v_fma_f32 v34, 0x3f62ad3f, v14, -v60
	v_add_f32_e32 v26, v33, v29
	v_fma_f32 v33, 0xbf3f9e67, v11, -v99
	v_add_f32_e32 v29, v32, v30
	v_add_f32_e32 v32, v1, v94
	;; [unrolled: 1-line block ×3, first 2 shown]
	v_fma_f32 v31, 0xbf3f9e67, v15, -v85
	v_fmac_f32_e32 v105, 0xbf6f5d39, v16
	v_dual_add_f32 v29, v40, v29 :: v_dual_add_f32 v34, v1, v106
	v_add_f32_e32 v40, v1, v130
	s_delay_alu instid0(VALU_DEP_4) | instskip(SKIP_1) | instid1(VALU_DEP_4)
	v_add_f32_e32 v30, v31, v30
	v_fma_f32 v31, 0x3f116cb1, v17, -v87
	v_add_f32_e32 v28, v28, v29
	v_fma_f32 v44, 0xbf3f9e67, v19, -v134
	v_add_f32_e32 v40, v133, v40
	ds_store_b64 v90, v[26:27]
	v_add_f32_e32 v29, v31, v30
	v_fma_f32 v30, 0xbeb58ec6, v18, -v93
	v_add_f32_e32 v28, v46, v28
	v_add_f32_e32 v40, v132, v40
	s_delay_alu instid0(VALU_DEP_3) | instskip(SKIP_1) | instid1(VALU_DEP_3)
	v_add_f32_e32 v30, v30, v29
	v_dual_add_f32 v32, v95, v32 :: v_dual_fmac_f32 v97, 0xbf52af12, v9
	v_add_f32_e32 v40, v136, v40
	v_fmac_f32_e32 v118, 0xbf7e222b, v13
	v_fma_f32 v9, 0x3df6dbef, v15, -v43
	s_delay_alu instid0(VALU_DEP_4) | instskip(SKIP_1) | instid1(VALU_DEP_2)
	v_add_f32_e32 v31, v97, v32
	v_fma_f32 v32, 0x3df6dbef, v19, -v98
	v_add_f32_e32 v31, v100, v31
	v_add_f32_e32 v29, v88, v28
	s_delay_alu instid0(VALU_DEP_3) | instskip(SKIP_4) | instid1(VALU_DEP_3)
	v_add_f32_e32 v28, v32, v30
	v_add_f32_e32 v32, v0, v33
	v_fma_f32 v33, 0x3df6dbef, v14, -v101
	v_add_f32_e32 v30, v102, v31
	v_fmac_f32_e32 v108, 0x3f29c268, v12
	v_add_f32_e32 v32, v33, v32
	s_delay_alu instid0(VALU_DEP_3) | instskip(SKIP_3) | instid1(VALU_DEP_3)
	v_add_f32_e32 v31, v105, v30
	v_fma_f32 v30, 0xbeb58ec6, v11, -v111
	v_fma_f32 v33, 0x3f116cb1, v15, -v103
	v_add_f32_e32 v34, v108, v34
	v_add_f32_e32 v30, v0, v30
	s_delay_alu instid0(VALU_DEP_2) | instskip(NEXT) | instid1(VALU_DEP_2)
	v_add_f32_e32 v34, v109, v34
	v_add_f32_e32 v30, v35, v30
	v_fma_f32 v35, 0x3f62ad3f, v15, -v115
	s_delay_alu instid0(VALU_DEP_3) | instskip(NEXT) | instid1(VALU_DEP_2)
	v_add_f32_e32 v34, v112, v34
	v_add_f32_e32 v30, v35, v30
	v_fma_f32 v35, 0x3df6dbef, v17, -v116
	v_add_f32_e32 v32, v33, v32
	v_fma_f32 v33, 0xbf788fa5, v17, -v104
	v_add_f32_e32 v34, v114, v34
	s_delay_alu instid0(VALU_DEP_2) | instskip(SKIP_1) | instid1(VALU_DEP_1)
	v_dual_add_f32 v35, v35, v30 :: v_dual_add_f32 v32, v33, v32
	v_fma_f32 v33, 0x3f62ad3f, v18, -v107
	v_add_f32_e32 v32, v33, v32
	v_fma_f32 v33, 0xbeb58ec6, v19, -v110
	s_delay_alu instid0(VALU_DEP_1) | instskip(SKIP_3) | instid1(VALU_DEP_3)
	v_add_f32_e32 v30, v33, v32
	v_fma_f32 v32, 0x3df6dbef, v11, -v123
	v_dual_add_f32 v33, v117, v34 :: v_dual_add_f32 v34, v36, v35
	v_fma_f32 v36, 0xbf788fa5, v14, -v125
	v_add_f32_e32 v32, v0, v32
	s_delay_alu instid0(VALU_DEP_1) | instskip(SKIP_1) | instid1(VALU_DEP_1)
	v_add_f32_e32 v32, v36, v32
	v_fma_f32 v36, 0xbeb58ec6, v15, -v128
	v_add_f32_e32 v32, v36, v32
	v_fma_f32 v36, 0x3f62ad3f, v17, -v127
	s_delay_alu instid0(VALU_DEP_1) | instskip(SKIP_1) | instid1(VALU_DEP_1)
	v_add_f32_e32 v32, v36, v32
	v_fma_f32 v36, 0x3f116cb1, v18, -v131
	v_add_f32_e32 v36, v36, v32
	v_dual_add_f32 v32, v39, v34 :: v_dual_add_f32 v39, v140, v40
	v_add_f32_e32 v35, v1, v118
	s_delay_alu instid0(VALU_DEP_3) | instskip(SKIP_2) | instid1(VALU_DEP_4)
	v_dual_add_f32 v1, v1, v53 :: v_dual_add_f32 v34, v44, v36
	v_fma_f32 v36, 0x3f116cb1, v11, -v135
	v_fma_f32 v11, 0x3f62ad3f, v11, -v51
	v_add_f32_e32 v35, v120, v35
	s_delay_alu instid0(VALU_DEP_4) | instskip(NEXT) | instid1(VALU_DEP_4)
	v_add_f32_e32 v1, v37, v1
	v_add_f32_e32 v13, v0, v36
	v_fma_f32 v36, 0xbeb58ec6, v14, -v139
	v_add_f32_e32 v0, v0, v11
	v_fma_f32 v11, 0x3f116cb1, v14, -v38
	v_add_f32_e32 v1, v42, v1
	s_delay_alu instid0(VALU_DEP_4) | instskip(SKIP_1) | instid1(VALU_DEP_4)
	v_dual_add_f32 v35, v121, v35 :: v_dual_add_f32 v12, v36, v13
	v_fma_f32 v13, 0xbf788fa5, v15, -v142
	v_add_f32_e32 v0, v11, v0
	s_delay_alu instid0(VALU_DEP_2) | instskip(SKIP_1) | instid1(VALU_DEP_3)
	v_add_f32_e32 v11, v13, v12
	v_fma_f32 v12, 0xbf3f9e67, v17, -v138
	v_add_f32_e32 v0, v9, v0
	v_lshl_add_u32 v13, v89, 3, v91
	s_delay_alu instid0(VALU_DEP_3) | instskip(SKIP_1) | instid1(VALU_DEP_4)
	v_add_f32_e32 v9, v12, v11
	v_fma_f32 v11, 0x3df6dbef, v18, -v143
	v_add_f32_e32 v0, v8, v0
	v_fma_f32 v8, 0xbf3f9e67, v18, -v52
	;; [unrolled: 2-line block ×3, first 2 shown]
	v_add_f32_e32 v9, v11, v9
	ds_store_2addr_b64 v13, v[24:25], v[22:23] offset0:50 offset1:100
	v_dual_add_f32 v8, v8, v0 :: v_dual_add_f32 v35, v126, v35
	v_add_f32_e32 v0, v10, v9
	v_add_f32_e32 v1, v41, v1
	s_delay_alu instid0(VALU_DEP_3) | instskip(NEXT) | instid1(VALU_DEP_4)
	v_dual_add_f32 v35, v129, v35 :: v_dual_add_nc_u32 v10, 0x400, v13
	v_add_f32_e32 v8, v12, v8
	v_add_nc_u32_e32 v12, 0x1000, v13
	s_delay_alu instid0(VALU_DEP_4) | instskip(SKIP_1) | instid1(VALU_DEP_2)
	v_add_f32_e32 v11, v45, v1
	v_add_f32_e32 v1, v141, v39
	;; [unrolled: 1-line block ×3, first 2 shown]
	v_add_nc_u32_e32 v11, 0x800, v13
	ds_store_2addr_b64 v13, v[20:21], v[6:7] offset0:150 offset1:200
	ds_store_2addr_b64 v10, v[4:5], v[2:3] offset0:122 offset1:172
	;; [unrolled: 1-line block ×5, first 2 shown]
.LBB0_9:
	s_wait_alu 0xfffe
	s_or_b32 exec_lo, exec_lo, s0
	global_wb scope:SCOPE_SE
	s_wait_dscnt 0x0
	s_barrier_signal -1
	s_barrier_wait -1
	global_inv scope:SCOPE_SE
	ds_load_2addr_b64 v[0:3], v90 offset1:65
	ds_load_2addr_b64 v[4:7], v90 offset0:130 offset1:195
	v_add_nc_u32_e32 v12, 0x800, v90
	v_mad_co_u64_u32 v[42:43], null, s4, v89, 0
	s_mov_b32 s0, 0x7f9b2ce6
	s_mov_b32 s1, 0x3f5934c6
	v_mad_co_u64_u32 v[16:17], null, s6, v64, 0
	s_wait_dscnt 0x1
	v_mul_f32_e32 v19, v74, v0
	ds_load_2addr_b64 v[8:11], v12 offset0:4 offset1:69
	ds_load_2addr_b64 v[12:15], v12 offset0:134 offset1:199
	v_dual_mul_f32 v18, v74, v1 :: v_dual_mul_f32 v21, v76, v2
	v_mul_f32_e32 v20, v76, v3
	s_wait_dscnt 0x2
	v_mul_f32_e32 v24, v80, v5
	v_mul_f32_e32 v22, v80, v4
	v_fmac_f32_e32 v18, v73, v0
	v_fma_f32 v0, v73, v1, -v19
	v_fma_f32 v1, v75, v3, -v21
	s_wait_dscnt 0x1
	v_mul_f32_e32 v33, v72, v10
	v_dual_mul_f32 v29, v70, v9 :: v_dual_fmac_f32 v20, v75, v2
	s_wait_dscnt 0x0
	v_mul_f32_e32 v35, v78, v12
	v_fma_f32 v2, v79, v5, -v22
	v_cvt_f64_f32_e32 v[22:23], v1
	v_mul_f32_e32 v1, v70, v8
	v_fmac_f32_e32 v24, v79, v4
	v_cvt_f64_f32_e32 v[4:5], v18
	v_cvt_f64_f32_e32 v[18:19], v0
	;; [unrolled: 1-line block ×3, first 2 shown]
	v_fma_f32 v31, v69, v9, -v1
	v_dual_mul_f32 v28, v66, v7 :: v_dual_fmac_f32 v29, v69, v8
	v_cvt_f64_f32_e32 v[20:21], v20
	v_mul_f32_e32 v36, v68, v15
	v_mul_f32_e32 v32, v72, v11
	;; [unrolled: 1-line block ×3, first 2 shown]
	v_fma_f32 v33, v71, v11, -v33
	v_fma_f32 v35, v77, v13, -v35
	v_fmac_f32_e32 v36, v67, v14
	v_mul_f32_e32 v14, v68, v14
	v_fmac_f32_e32 v32, v71, v10
	v_fmac_f32_e32 v34, v77, v12
	v_cvt_f64_f32_e32 v[12:13], v33
	v_cvt_f64_f32_e32 v[36:37], v36
	v_fma_f32 v14, v67, v15, -v14
	v_cvt_f64_f32_e32 v[10:11], v32
	v_cvt_f64_f32_e32 v[32:33], v34
	;; [unrolled: 1-line block ×3, first 2 shown]
	s_wait_alu 0xfffe
	v_mul_f64_e32 v[22:23], s[0:1], v[22:23]
	v_mul_f64_e32 v[4:5], s[0:1], v[4:5]
	;; [unrolled: 1-line block ×10, first 2 shown]
	v_cvt_f32_f64_e32 v4, v[4:5]
	v_mad_co_u64_u32 v[44:45], null, s7, v64, v[17:18]
	v_dual_mov_b32 v17, v43 :: v_dual_mul_f32 v0, v66, v6
	v_cvt_f32_f64_e32 v5, v[18:19]
	v_cvt_f32_f64_e32 v19, v[22:23]
	;; [unrolled: 1-line block ×3, first 2 shown]
	s_delay_alu instid0(VALU_DEP_4) | instskip(SKIP_3) | instid1(VALU_DEP_3)
	v_mad_co_u64_u32 v[45:46], null, s5, v89, v[17:18]
	v_dual_mov_b32 v17, v44 :: v_dual_add_nc_u32 v2, 0x1000, v90
	v_fma_f32 v30, v65, v7, -v0
	v_cvt_f32_f64_e32 v18, v[20:21]
	v_lshlrev_b64_e32 v[16:17], 3, v[16:17]
	v_mov_b32_e32 v43, v45
	ds_load_2addr_b64 v[0:3], v2 offset0:8 offset1:73
	v_fmac_f32_e32 v28, v65, v6
	v_cvt_f64_f32_e32 v[8:9], v30
	v_cvt_f64_f32_e32 v[30:31], v31
	v_lshlrev_b64_e32 v[42:43], 3, v[42:43]
	v_add_co_u32 v16, vcc_lo, s2, v16
	s_wait_alu 0xfffd
	v_add_co_ci_u32_e32 v17, vcc_lo, s3, v17, vcc_lo
	v_cvt_f32_f64_e32 v10, v[10:11]
	s_delay_alu instid0(VALU_DEP_3) | instskip(SKIP_1) | instid1(VALU_DEP_3)
	v_add_co_u32 v16, vcc_lo, v16, v42
	s_wait_alu 0xfffd
	v_add_co_ci_u32_e32 v17, vcc_lo, v17, v43, vcc_lo
	v_cvt_f32_f64_e32 v11, v[12:13]
	v_cvt_f32_f64_e32 v12, v[32:33]
	;; [unrolled: 1-line block ×4, first 2 shown]
	s_wait_dscnt 0x0
	v_mul_f32_e32 v39, v82, v0
	v_mul_f32_e32 v41, v84, v2
	v_cvt_f64_f32_e32 v[24:25], v24
	v_cvt_f64_f32_e32 v[6:7], v28
	v_mul_f32_e32 v38, v82, v1
	v_mul_f32_e32 v40, v84, v3
	v_fma_f32 v15, v81, v1, -v39
	v_fma_f32 v41, v83, v3, -v41
	v_cvt_f64_f32_e32 v[28:29], v29
	v_fmac_f32_e32 v38, v81, v0
	v_fmac_f32_e32 v40, v83, v2
	v_cvt_f64_f32_e32 v[0:1], v14
	v_cvt_f64_f32_e32 v[14:15], v15
	global_store_b64 v[16:17], v[4:5], off
	v_cvt_f64_f32_e32 v[2:3], v38
	v_cvt_f64_f32_e32 v[38:39], v40
	;; [unrolled: 1-line block ×3, first 2 shown]
	v_mul_f64_e32 v[8:9], s[0:1], v[8:9]
	v_mul_f64_e32 v[30:31], s[0:1], v[30:31]
	;; [unrolled: 1-line block ×10, first 2 shown]
	s_mul_u64 s[0:1], s[4:5], 0x208
	s_wait_alu 0xfffe
	v_add_co_u32 v20, vcc_lo, v16, s0
	s_wait_alu 0xfffd
	v_add_co_ci_u32_e32 v21, vcc_lo, s1, v17, vcc_lo
	global_store_b64 v[20:21], v[18:19], off
	v_cvt_f32_f64_e32 v22, v[24:25]
	v_cvt_f32_f64_e32 v6, v[6:7]
	;; [unrolled: 1-line block ×3, first 2 shown]
	v_add_co_u32 v8, vcc_lo, v20, s0
	v_cvt_f32_f64_e32 v25, v[30:31]
	v_cvt_f32_f64_e32 v24, v[28:29]
	s_wait_alu 0xfffd
	v_add_co_ci_u32_e32 v9, vcc_lo, s1, v21, vcc_lo
	v_cvt_f32_f64_e32 v27, v[0:1]
	v_cvt_f32_f64_e32 v1, v[14:15]
	v_add_co_u32 v14, vcc_lo, v8, s0
	v_cvt_f32_f64_e32 v0, v[2:3]
	v_cvt_f32_f64_e32 v2, v[38:39]
	;; [unrolled: 1-line block ×3, first 2 shown]
	s_wait_alu 0xfffd
	v_add_co_ci_u32_e32 v15, vcc_lo, s1, v9, vcc_lo
	v_add_co_u32 v28, vcc_lo, v14, s0
	s_wait_alu 0xfffd
	s_delay_alu instid0(VALU_DEP_2) | instskip(NEXT) | instid1(VALU_DEP_2)
	v_add_co_ci_u32_e32 v29, vcc_lo, s1, v15, vcc_lo
	v_add_co_u32 v4, vcc_lo, v28, s0
	s_wait_alu 0xfffd
	s_delay_alu instid0(VALU_DEP_2) | instskip(NEXT) | instid1(VALU_DEP_2)
	v_add_co_ci_u32_e32 v5, vcc_lo, s1, v29, vcc_lo
	v_add_co_u32 v16, vcc_lo, v4, s0
	s_wait_alu 0xfffd
	s_delay_alu instid0(VALU_DEP_2)
	v_add_co_ci_u32_e32 v17, vcc_lo, s1, v5, vcc_lo
	global_store_b64 v[8:9], v[22:23], off
	v_add_co_u32 v8, vcc_lo, v16, s0
	s_wait_alu 0xfffd
	v_add_co_ci_u32_e32 v9, vcc_lo, s1, v17, vcc_lo
	global_store_b64 v[14:15], v[6:7], off
	v_add_co_u32 v6, vcc_lo, v8, s0
	s_wait_alu 0xfffd
	;; [unrolled: 4-line block ×3, first 2 shown]
	v_add_co_ci_u32_e32 v15, vcc_lo, s1, v7, vcc_lo
	global_store_b64 v[4:5], v[10:11], off
	global_store_b64 v[16:17], v[12:13], off
	;; [unrolled: 1-line block ×5, first 2 shown]
.LBB0_10:
	s_nop 0
	s_sendmsg sendmsg(MSG_DEALLOC_VGPRS)
	s_endpgm
	.section	.rodata,"a",@progbits
	.p2align	6, 0x0
	.amdhsa_kernel bluestein_single_fwd_len650_dim1_sp_op_CI_CI
		.amdhsa_group_segment_fixed_size 15600
		.amdhsa_private_segment_fixed_size 0
		.amdhsa_kernarg_size 104
		.amdhsa_user_sgpr_count 2
		.amdhsa_user_sgpr_dispatch_ptr 0
		.amdhsa_user_sgpr_queue_ptr 0
		.amdhsa_user_sgpr_kernarg_segment_ptr 1
		.amdhsa_user_sgpr_dispatch_id 0
		.amdhsa_user_sgpr_private_segment_size 0
		.amdhsa_wavefront_size32 1
		.amdhsa_uses_dynamic_stack 0
		.amdhsa_enable_private_segment 0
		.amdhsa_system_sgpr_workgroup_id_x 1
		.amdhsa_system_sgpr_workgroup_id_y 0
		.amdhsa_system_sgpr_workgroup_id_z 0
		.amdhsa_system_sgpr_workgroup_info 0
		.amdhsa_system_vgpr_workitem_id 0
		.amdhsa_next_free_vgpr 230
		.amdhsa_next_free_sgpr 20
		.amdhsa_reserve_vcc 1
		.amdhsa_float_round_mode_32 0
		.amdhsa_float_round_mode_16_64 0
		.amdhsa_float_denorm_mode_32 3
		.amdhsa_float_denorm_mode_16_64 3
		.amdhsa_fp16_overflow 0
		.amdhsa_workgroup_processor_mode 1
		.amdhsa_memory_ordered 1
		.amdhsa_forward_progress 0
		.amdhsa_round_robin_scheduling 0
		.amdhsa_exception_fp_ieee_invalid_op 0
		.amdhsa_exception_fp_denorm_src 0
		.amdhsa_exception_fp_ieee_div_zero 0
		.amdhsa_exception_fp_ieee_overflow 0
		.amdhsa_exception_fp_ieee_underflow 0
		.amdhsa_exception_fp_ieee_inexact 0
		.amdhsa_exception_int_div_zero 0
	.end_amdhsa_kernel
	.text
.Lfunc_end0:
	.size	bluestein_single_fwd_len650_dim1_sp_op_CI_CI, .Lfunc_end0-bluestein_single_fwd_len650_dim1_sp_op_CI_CI
                                        ; -- End function
	.section	.AMDGPU.csdata,"",@progbits
; Kernel info:
; codeLenInByte = 13764
; NumSgprs: 22
; NumVgprs: 230
; ScratchSize: 0
; MemoryBound: 0
; FloatMode: 240
; IeeeMode: 1
; LDSByteSize: 15600 bytes/workgroup (compile time only)
; SGPRBlocks: 2
; VGPRBlocks: 28
; NumSGPRsForWavesPerEU: 22
; NumVGPRsForWavesPerEU: 230
; Occupancy: 6
; WaveLimiterHint : 1
; COMPUTE_PGM_RSRC2:SCRATCH_EN: 0
; COMPUTE_PGM_RSRC2:USER_SGPR: 2
; COMPUTE_PGM_RSRC2:TRAP_HANDLER: 0
; COMPUTE_PGM_RSRC2:TGID_X_EN: 1
; COMPUTE_PGM_RSRC2:TGID_Y_EN: 0
; COMPUTE_PGM_RSRC2:TGID_Z_EN: 0
; COMPUTE_PGM_RSRC2:TIDIG_COMP_CNT: 0
	.text
	.p2alignl 7, 3214868480
	.fill 96, 4, 3214868480
	.type	__hip_cuid_9e8f20d6e2938326,@object ; @__hip_cuid_9e8f20d6e2938326
	.section	.bss,"aw",@nobits
	.globl	__hip_cuid_9e8f20d6e2938326
__hip_cuid_9e8f20d6e2938326:
	.byte	0                               ; 0x0
	.size	__hip_cuid_9e8f20d6e2938326, 1

	.ident	"AMD clang version 19.0.0git (https://github.com/RadeonOpenCompute/llvm-project roc-6.4.0 25133 c7fe45cf4b819c5991fe208aaa96edf142730f1d)"
	.section	".note.GNU-stack","",@progbits
	.addrsig
	.addrsig_sym __hip_cuid_9e8f20d6e2938326
	.amdgpu_metadata
---
amdhsa.kernels:
  - .args:
      - .actual_access:  read_only
        .address_space:  global
        .offset:         0
        .size:           8
        .value_kind:     global_buffer
      - .actual_access:  read_only
        .address_space:  global
        .offset:         8
        .size:           8
        .value_kind:     global_buffer
      - .actual_access:  read_only
        .address_space:  global
        .offset:         16
        .size:           8
        .value_kind:     global_buffer
      - .actual_access:  read_only
        .address_space:  global
        .offset:         24
        .size:           8
        .value_kind:     global_buffer
      - .actual_access:  read_only
        .address_space:  global
        .offset:         32
        .size:           8
        .value_kind:     global_buffer
      - .offset:         40
        .size:           8
        .value_kind:     by_value
      - .address_space:  global
        .offset:         48
        .size:           8
        .value_kind:     global_buffer
      - .address_space:  global
        .offset:         56
        .size:           8
        .value_kind:     global_buffer
      - .address_space:  global
        .offset:         64
        .size:           8
        .value_kind:     global_buffer
      - .address_space:  global
        .offset:         72
        .size:           8
        .value_kind:     global_buffer
      - .offset:         80
        .size:           4
        .value_kind:     by_value
      - .address_space:  global
        .offset:         88
        .size:           8
        .value_kind:     global_buffer
      - .address_space:  global
        .offset:         96
        .size:           8
        .value_kind:     global_buffer
    .group_segment_fixed_size: 15600
    .kernarg_segment_align: 8
    .kernarg_segment_size: 104
    .language:       OpenCL C
    .language_version:
      - 2
      - 0
    .max_flat_workgroup_size: 195
    .name:           bluestein_single_fwd_len650_dim1_sp_op_CI_CI
    .private_segment_fixed_size: 0
    .sgpr_count:     22
    .sgpr_spill_count: 0
    .symbol:         bluestein_single_fwd_len650_dim1_sp_op_CI_CI.kd
    .uniform_work_group_size: 1
    .uses_dynamic_stack: false
    .vgpr_count:     230
    .vgpr_spill_count: 0
    .wavefront_size: 32
    .workgroup_processor_mode: 1
amdhsa.target:   amdgcn-amd-amdhsa--gfx1201
amdhsa.version:
  - 1
  - 2
...

	.end_amdgpu_metadata
